;; amdgpu-corpus repo=ROCm/rocFFT kind=compiled arch=gfx906 opt=O3
	.text
	.amdgcn_target "amdgcn-amd-amdhsa--gfx906"
	.amdhsa_code_object_version 6
	.protected	fft_rtc_fwd_len289_factors_17_17_wgs_119_tpt_17_sp_op_CI_CI_sbrc_xy_z_unaligned_dirReg ; -- Begin function fft_rtc_fwd_len289_factors_17_17_wgs_119_tpt_17_sp_op_CI_CI_sbrc_xy_z_unaligned_dirReg
	.globl	fft_rtc_fwd_len289_factors_17_17_wgs_119_tpt_17_sp_op_CI_CI_sbrc_xy_z_unaligned_dirReg
	.p2align	8
	.type	fft_rtc_fwd_len289_factors_17_17_wgs_119_tpt_17_sp_op_CI_CI_sbrc_xy_z_unaligned_dirReg,@function
fft_rtc_fwd_len289_factors_17_17_wgs_119_tpt_17_sp_op_CI_CI_sbrc_xy_z_unaligned_dirReg: ; @fft_rtc_fwd_len289_factors_17_17_wgs_119_tpt_17_sp_op_CI_CI_sbrc_xy_z_unaligned_dirReg
; %bb.0:
	s_load_dwordx4 s[0:3], s[4:5], 0x10
	s_load_dwordx2 s[16:17], s[4:5], 0x20
	s_mov_b32 s7, 0
	s_mov_b32 s21, s7
	s_waitcnt lgkmcnt(0)
	s_load_dwordx4 s[8:11], s[0:1], 0x8
	s_load_dwordx4 s[12:15], s[2:3], 0x0
	s_load_dwordx2 s[18:19], s[2:3], 0x10
	s_waitcnt lgkmcnt(0)
	s_add_i32 s0, s10, -1
	s_mul_hi_u32 s1, s0, 0x24924925
	s_sub_i32 s0, s0, s1
	s_lshr_b32 s0, s0, 1
	s_add_i32 s0, s0, s1
	s_lshr_b32 s0, s0, 2
	s_add_i32 s0, s0, 1
	s_mul_i32 s0, s0, s8
	v_cvt_f32_u32_e32 v1, s0
	s_sub_i32 s1, 0, s0
	v_rcp_iflag_f32_e32 v1, v1
	v_mul_f32_e32 v1, 0x4f7ffffe, v1
	v_cvt_u32_f32_e32 v3, v1
	v_mov_b32_e32 v1, s8
	v_mov_b32_e32 v2, s9
	v_readfirstlane_b32 s11, v3
	s_mul_i32 s1, s1, s11
	s_mul_hi_u32 s1, s11, s1
	s_add_i32 s11, s11, s1
	s_mul_hi_u32 s1, s6, s11
	s_mul_i32 s11, s1, s0
	s_sub_i32 s11, s6, s11
	s_add_i32 s15, s1, 1
	s_sub_i32 s19, s11, s0
	s_cmp_ge_u32 s11, s0
	s_cselect_b32 s1, s15, s1
	s_cselect_b32 s11, s19, s11
	s_add_i32 s15, s1, 1
	s_cmp_ge_u32 s11, s0
	s_cselect_b32 s19, s15, s1
	s_mul_i32 s0, s19, s0
	s_sub_i32 s20, s6, s0
	v_cmp_lt_u64_e32 vcc, s[20:21], v[1:2]
	v_cvt_f32_u32_e32 v1, s8
	s_mov_b64 s[0:1], 0
	s_cbranch_vccnz .LBB0_2
; %bb.1:
	v_rcp_iflag_f32_e32 v2, v1
	s_sub_i32 s0, 0, s8
	v_mul_f32_e32 v2, 0x4f7ffffe, v2
	v_cvt_u32_f32_e32 v2, v2
	v_readfirstlane_b32 s1, v2
	s_mul_i32 s0, s0, s1
	s_mul_hi_u32 s0, s1, s0
	s_add_i32 s1, s1, s0
	s_mul_hi_u32 s0, s20, s1
	s_mul_i32 s11, s0, s8
	s_sub_i32 s11, s20, s11
	s_add_i32 s1, s0, 1
	s_sub_i32 s15, s11, s8
	s_cmp_ge_u32 s11, s8
	s_cselect_b32 s0, s1, s0
	s_cselect_b32 s11, s15, s11
	s_add_i32 s1, s0, 1
	s_cmp_ge_u32 s11, s8
	s_cselect_b32 s0, s1, s0
.LBB0_2:
	s_load_dwordx2 s[20:21], s[4:5], 0x58
	v_mov_b32_e32 v2, s8
	v_mov_b32_e32 v3, s9
	v_cmp_lt_u64_e32 vcc, s[6:7], v[2:3]
	s_cbranch_vccnz .LBB0_4
; %bb.3:
	v_rcp_iflag_f32_e32 v1, v1
	s_sub_i32 s1, 0, s8
	v_mul_f32_e32 v1, 0x4f7ffffe, v1
	v_cvt_u32_f32_e32 v1, v1
	v_readfirstlane_b32 s7, v1
	s_mul_i32 s1, s1, s7
	s_mul_hi_u32 s1, s7, s1
	s_add_i32 s7, s7, s1
	s_mul_hi_u32 s1, s6, s7
	s_mul_i32 s1, s1, s8
	s_sub_i32 s1, s6, s1
	s_sub_i32 s6, s1, s8
	s_cmp_ge_u32 s1, s8
	s_cselect_b32 s1, s6, s1
	s_sub_i32 s6, s1, s8
	s_cmp_ge_u32 s1, s8
	s_cselect_b32 s6, s6, s1
.LBB0_4:
	s_load_dwordx2 s[8:9], s[4:5], 0x8
	s_mul_i32 s26, s0, 7
	s_mul_i32 s1, s6, s14
	;; [unrolled: 1-line block ×3, first 2 shown]
	s_add_i32 s7, s1, s0
	s_waitcnt lgkmcnt(0)
	s_lshl_b64 s[14:15], s[8:9], 3
	s_add_u32 s22, s2, s14
	s_addc_u32 s23, s3, s15
	s_load_dwordx2 s[24:25], s[22:23], 0x0
	s_load_dwordx4 s[0:3], s[16:17], 0x0
	s_load_dwordx2 s[8:9], s[16:17], 0x10
	s_waitcnt lgkmcnt(0)
	s_mul_i32 s3, s25, s19
	s_mul_hi_u32 s9, s24, s19
	s_mul_i32 s11, s24, s19
	s_add_i32 s9, s9, s3
	s_add_u32 s22, s11, s7
	s_addc_u32 s23, s9, 0
	s_add_u32 s14, s16, s14
	s_addc_u32 s15, s17, s15
	s_load_dwordx2 s[14:15], s[14:15], 0x0
	s_add_i32 s3, s26, 7
	s_cmp_le_u32 s3, s10
	s_cselect_b64 s[16:17], -1, 0
	s_mov_b64 s[24:25], -1
	s_and_b64 vcc, exec, s[16:17]
	s_cbranch_vccnz .LBB0_8
; %bb.5:
	s_lshl_b64 s[24:25], s[22:23], 3
	s_add_u32 s3, s20, s24
	s_addc_u32 s9, s21, s25
	s_mov_b64 s[24:25], 0
	s_mov_b32 s7, 0xe2c5
	v_mov_b32_e32 v2, 0
	v_mov_b32_e32 v3, s9
	s_movk_i32 s9, 0x7e6
	v_mov_b32_e32 v4, v0
.LBB0_6:                                ; =>This Inner Loop Header: Depth=1
	v_mul_u32_u24_sdwa v1, v4, s7 dst_sel:DWORD dst_unused:UNUSED_PAD src0_sel:WORD_0 src1_sel:DWORD
	v_lshrrev_b32_e32 v11, 24, v1
	v_mul_lo_u16_e32 v5, 0x121, v11
	v_sub_u16_e32 v12, v4, v5
	v_mul_lo_u32 v1, s18, v11
	v_mad_u64_u32 v[5:6], s[28:29], s12, v12, 0
	v_add_u32_e32 v4, 0x77, v4
	v_lshlrev_b64 v[7:8], 3, v[1:2]
	v_mov_b32_e32 v1, v6
	v_mad_u64_u32 v[9:10], s[28:29], s13, v12, v[1:2]
	v_mov_b32_e32 v6, v9
	v_lshlrev_b64 v[5:6], 3, v[5:6]
	v_add_co_u32_e32 v1, vcc, s3, v5
	v_addc_co_u32_e32 v6, vcc, v3, v6, vcc
	v_add_co_u32_e32 v5, vcc, v1, v7
	v_addc_co_u32_e32 v6, vcc, v6, v8, vcc
	global_load_dwordx2 v[5:6], v[5:6], off
	v_mad_legacy_u16 v1, v12, 7, v11
	v_cmp_lt_u32_e32 vcc, s9, v4
	v_lshl_add_u32 v1, v1, 3, 0
	s_or_b64 s[24:25], vcc, s[24:25]
	s_waitcnt vmcnt(0)
	ds_write_b64 v1, v[5:6]
	s_andn2_b64 exec, exec, s[24:25]
	s_cbranch_execnz .LBB0_6
; %bb.7:
	s_or_b64 exec, exec, s[24:25]
	s_mov_b64 s[24:25], 0
.LBB0_8:
	s_and_b64 vcc, exec, s[24:25]
	s_cbranch_vccz .LBB0_10
; %bb.9:
	v_and_b32_e32 v3, 0xffff, v0
	v_mad_u64_u32 v[1:2], s[24:25], s12, v3, 0
	s_lshl_b64 s[22:23], s[22:23], 3
	s_add_u32 s3, s20, s22
	v_mad_u64_u32 v[2:3], s[24:25], s13, v3, v[2:3]
	v_add_u16_e32 v4, 0x77, v0
	s_addc_u32 s7, s21, s23
	v_mad_u64_u32 v[5:6], s[20:21], s12, v4, 0
	v_lshlrev_b64 v[1:2], 3, v[1:2]
	v_mov_b32_e32 v3, s7
	v_add_co_u32_e32 v7, vcc, s3, v1
	v_mov_b32_e32 v1, v6
	v_addc_co_u32_e32 v8, vcc, v3, v2, vcc
	v_mad_u64_u32 v[1:2], s[20:21], s13, v4, v[1:2]
	v_add_u16_e32 v2, 0xee, v0
	v_mul_u32_u24_e32 v3, 0xe3, v2
	v_lshrrev_b32_e32 v3, 16, v3
	v_mul_lo_u16_e32 v4, 0x121, v3
	v_sub_u16_e32 v4, v2, v4
	v_mad_u64_u32 v[9:10], s[20:21], s12, v4, 0
	v_mov_b32_e32 v6, v1
	v_lshlrev_b64 v[1:2], 3, v[5:6]
	v_mov_b32_e32 v5, v10
	v_mad_u64_u32 v[5:6], s[20:21], s13, v4, v[5:6]
	v_add_u16_e32 v6, 0x165, v0
	v_add_co_u32_e32 v11, vcc, s3, v1
	v_mov_b32_e32 v10, v5
	v_mul_u32_u24_e32 v5, 0xe3, v6
	v_lshrrev_b32_e32 v5, 16, v5
	v_mul_lo_u16_e32 v13, 0x121, v5
	v_sub_u16_e32 v6, v6, v13
	v_mul_lo_u32 v1, s18, v3
	v_mad_u64_u32 v[13:14], s[20:21], s12, v6, 0
	v_mov_b32_e32 v12, s7
	v_lshlrev_b64 v[9:10], 3, v[9:10]
	v_addc_co_u32_e32 v12, vcc, v12, v2, vcc
	v_mov_b32_e32 v2, 0
	v_mov_b32_e32 v15, s7
	v_add_co_u32_e32 v16, vcc, s3, v9
	v_addc_co_u32_e32 v17, vcc, v15, v10, vcc
	v_lshlrev_b64 v[9:10], 3, v[1:2]
	v_mov_b32_e32 v1, v14
	v_mad_u64_u32 v[14:15], s[20:21], s13, v6, v[1:2]
	v_mul_lo_u32 v1, s18, v5
	v_add_co_u32_e32 v9, vcc, v16, v9
	v_lshlrev_b64 v[13:14], 3, v[13:14]
	v_addc_co_u32_e32 v10, vcc, v17, v10, vcc
	v_mov_b32_e32 v15, s7
	v_add_co_u32_e32 v17, vcc, s3, v13
	v_addc_co_u32_e32 v18, vcc, v15, v14, vcc
	v_lshlrev_b64 v[13:14], 3, v[1:2]
	v_add_u16_e32 v1, 0x1dc, v0
	v_mul_u32_u24_e32 v15, 0xe3, v1
	v_lshrrev_b32_e32 v45, 16, v15
	v_mul_lo_u16_e32 v15, 0x121, v45
	v_sub_u16_e32 v46, v1, v15
	v_mad_u64_u32 v[15:16], s[20:21], s12, v46, 0
	v_add_co_u32_e32 v13, vcc, v17, v13
	v_mov_b32_e32 v1, v16
	v_mad_u64_u32 v[16:17], s[20:21], s13, v46, v[1:2]
	v_addc_co_u32_e32 v14, vcc, v18, v14, vcc
	global_load_dwordx2 v[17:18], v[7:8], off
	global_load_dwordx2 v[19:20], v[11:12], off
	;; [unrolled: 1-line block ×4, first 2 shown]
	v_add_u16_e32 v9, 0x253, v0
	v_mul_u32_u24_e32 v10, 0xe3, v9
	v_lshrrev_b32_e32 v47, 16, v10
	v_mul_lo_u16_e32 v10, 0x121, v47
	v_sub_u16_e32 v48, v9, v10
	v_mul_lo_u32 v1, s18, v45
	v_mad_u64_u32 v[9:10], s[20:21], s12, v48, 0
	v_lshlrev_b64 v[7:8], 3, v[15:16]
	v_mov_b32_e32 v11, s7
	v_add_co_u32_e32 v12, vcc, s3, v7
	v_addc_co_u32_e32 v13, vcc, v11, v8, vcc
	v_lshlrev_b64 v[7:8], 3, v[1:2]
	v_mov_b32_e32 v1, v10
	v_mad_u64_u32 v[10:11], s[20:21], s13, v48, v[1:2]
	v_add_u16_e32 v11, 0x2ca, v0
	v_add_co_u32_e32 v7, vcc, v12, v7
	v_mul_u32_u24_e32 v12, 0xe3, v11
	v_lshrrev_b32_e32 v49, 16, v12
	v_mul_lo_u16_e32 v12, 0x121, v49
	v_sub_u16_e32 v50, v11, v12
	v_mul_lo_u32 v1, s18, v47
	v_mad_u64_u32 v[11:12], s[20:21], s12, v50, 0
	v_lshlrev_b64 v[9:10], 3, v[9:10]
	v_addc_co_u32_e32 v8, vcc, v13, v8, vcc
	v_mov_b32_e32 v13, s7
	v_add_co_u32_e32 v14, vcc, s3, v9
	v_addc_co_u32_e32 v15, vcc, v13, v10, vcc
	v_lshlrev_b64 v[9:10], 3, v[1:2]
	v_mov_b32_e32 v1, v12
	v_mad_u64_u32 v[12:13], s[20:21], s13, v50, v[1:2]
	v_add_u16_e32 v13, 0x341, v0
	v_add_co_u32_e32 v9, vcc, v14, v9
	v_mul_u32_u24_e32 v14, 0xe3, v13
	v_lshrrev_b32_e32 v51, 16, v14
	v_mul_lo_u16_e32 v14, 0x121, v51
	v_sub_u16_e32 v52, v13, v14
	v_mul_lo_u32 v1, s18, v49
	v_mad_u64_u32 v[13:14], s[20:21], s12, v52, 0
	v_lshlrev_b64 v[11:12], 3, v[11:12]
	v_addc_co_u32_e32 v10, vcc, v15, v10, vcc
	v_mov_b32_e32 v15, s7
	v_add_co_u32_e32 v16, vcc, s3, v11
	v_addc_co_u32_e32 v25, vcc, v15, v12, vcc
	v_lshlrev_b64 v[11:12], 3, v[1:2]
	v_mov_b32_e32 v1, v14
	v_mad_u64_u32 v[14:15], s[20:21], s13, v52, v[1:2]
	v_add_u16_e32 v15, 0x3b8, v0
	v_add_co_u32_e32 v11, vcc, v16, v11
	v_mul_u32_u24_e32 v16, 0x717, v15
	v_lshrrev_b32_e32 v53, 19, v16
	v_mul_lo_u16_e32 v16, 0x121, v53
	v_sub_u16_e32 v54, v15, v16
	v_mul_lo_u32 v1, s18, v51
	v_mad_u64_u32 v[15:16], s[20:21], s12, v54, 0
	v_lshlrev_b64 v[13:14], 3, v[13:14]
	v_addc_co_u32_e32 v12, vcc, v25, v12, vcc
	v_mov_b32_e32 v25, s7
	v_add_co_u32_e32 v27, vcc, s3, v13
	v_addc_co_u32_e32 v28, vcc, v25, v14, vcc
	v_lshlrev_b64 v[13:14], 3, v[1:2]
	v_mov_b32_e32 v1, v16
	v_mad_u64_u32 v[25:26], s[20:21], s13, v54, v[1:2]
	v_mul_lo_u32 v1, s18, v53
	v_add_co_u32_e32 v13, vcc, v27, v13
	v_mov_b32_e32 v16, v25
	v_add_u16_e32 v25, 0x42f, v0
	v_mul_u32_u24_e32 v26, 0x717, v25
	v_lshrrev_b32_e32 v55, 19, v26
	v_mul_lo_u16_e32 v26, 0x121, v55
	v_sub_u16_e32 v56, v25, v26
	v_mad_u64_u32 v[25:26], s[20:21], s12, v56, 0
	v_lshlrev_b64 v[15:16], 3, v[15:16]
	v_addc_co_u32_e32 v14, vcc, v28, v14, vcc
	v_mov_b32_e32 v27, s7
	v_add_co_u32_e32 v28, vcc, s3, v15
	v_addc_co_u32_e32 v29, vcc, v27, v16, vcc
	v_lshlrev_b64 v[15:16], 3, v[1:2]
	v_mov_b32_e32 v1, v26
	v_mad_u64_u32 v[26:27], s[20:21], s13, v56, v[1:2]
	v_mul_lo_u32 v1, s18, v55
	v_add_co_u32_e32 v15, vcc, v28, v15
	v_lshlrev_b64 v[25:26], 3, v[25:26]
	v_addc_co_u32_e32 v16, vcc, v29, v16, vcc
	v_mov_b32_e32 v27, s7
	v_add_co_u32_e32 v29, vcc, s3, v25
	v_addc_co_u32_e32 v30, vcc, v27, v26, vcc
	v_lshlrev_b64 v[25:26], 3, v[1:2]
	v_add_u16_e32 v1, 0x4a6, v0
	v_mul_u32_u24_e32 v27, 0x717, v1
	v_lshrrev_b32_e32 v57, 19, v27
	v_mul_lo_u16_e32 v27, 0x121, v57
	v_sub_u16_e32 v58, v1, v27
	v_mad_u64_u32 v[27:28], s[20:21], s12, v58, 0
	v_add_co_u32_e32 v25, vcc, v29, v25
	v_mov_b32_e32 v1, v28
	v_mad_u64_u32 v[28:29], s[20:21], s13, v58, v[1:2]
	v_addc_co_u32_e32 v26, vcc, v30, v26, vcc
	global_load_dwordx2 v[29:30], v[7:8], off
	global_load_dwordx2 v[31:32], v[9:10], off
	;; [unrolled: 1-line block ×4, first 2 shown]
	v_add_u16_e32 v9, 0x51d, v0
	v_mul_u32_u24_e32 v10, 0x717, v9
	v_lshrrev_b32_e32 v59, 19, v10
	v_mul_lo_u16_e32 v10, 0x121, v59
	v_sub_u16_e32 v60, v9, v10
	v_mul_lo_u32 v1, s18, v57
	v_mad_u64_u32 v[9:10], s[20:21], s12, v60, 0
	v_lshlrev_b64 v[7:8], 3, v[27:28]
	v_mov_b32_e32 v11, s7
	v_add_co_u32_e32 v12, vcc, s3, v7
	v_addc_co_u32_e32 v13, vcc, v11, v8, vcc
	v_lshlrev_b64 v[7:8], 3, v[1:2]
	v_mov_b32_e32 v1, v10
	v_mad_u64_u32 v[10:11], s[20:21], s13, v60, v[1:2]
	v_mul_lo_u32 v1, s18, v59
	v_add_co_u32_e32 v7, vcc, v12, v7
	v_lshlrev_b64 v[9:10], 3, v[9:10]
	v_addc_co_u32_e32 v8, vcc, v13, v8, vcc
	v_mov_b32_e32 v11, s7
	v_add_co_u32_e32 v13, vcc, s3, v9
	v_addc_co_u32_e32 v14, vcc, v11, v10, vcc
	v_lshlrev_b64 v[9:10], 3, v[1:2]
	v_add_u16_e32 v1, 0x594, v0
	v_mul_u32_u24_e32 v11, 0x717, v1
	v_lshrrev_b32_e32 v61, 19, v11
	v_mul_lo_u16_e32 v11, 0x121, v61
	v_sub_u16_e32 v62, v1, v11
	v_mad_u64_u32 v[11:12], s[20:21], s12, v62, 0
	v_add_co_u32_e32 v9, vcc, v13, v9
	v_mov_b32_e32 v1, v12
	v_mad_u64_u32 v[12:13], s[20:21], s13, v62, v[1:2]
	v_addc_co_u32_e32 v10, vcc, v14, v10, vcc
	global_load_dwordx2 v[13:14], v[15:16], off
	global_load_dwordx2 v[27:28], v[25:26], off
	;; [unrolled: 1-line block ×4, first 2 shown]
	v_add_u16_e32 v9, 0x60b, v0
	v_mul_u32_u24_e32 v10, 0x717, v9
	v_lshrrev_b32_e32 v63, 19, v10
	v_mul_lo_u16_e32 v10, 0x121, v63
	v_sub_u16_e32 v64, v9, v10
	v_mul_lo_u32 v1, s18, v61
	v_mad_u64_u32 v[9:10], s[20:21], s12, v64, 0
	v_lshlrev_b64 v[7:8], 3, v[11:12]
	v_mov_b32_e32 v11, s7
	v_add_co_u32_e32 v12, vcc, s3, v7
	v_addc_co_u32_e32 v15, vcc, v11, v8, vcc
	v_lshlrev_b64 v[7:8], 3, v[1:2]
	v_mov_b32_e32 v1, v10
	v_mad_u64_u32 v[10:11], s[20:21], s13, v64, v[1:2]
	v_add_u16_e32 v11, 0x682, v0
	v_add_co_u32_e32 v7, vcc, v12, v7
	v_mul_u32_u24_e32 v12, 0x717, v11
	v_lshrrev_b32_e32 v65, 19, v12
	v_mul_lo_u16_e32 v12, 0x121, v65
	v_sub_u16_e32 v66, v11, v12
	v_mul_lo_u32 v1, s18, v63
	v_mad_u64_u32 v[11:12], s[20:21], s12, v66, 0
	v_lshlrev_b64 v[9:10], 3, v[9:10]
	v_addc_co_u32_e32 v8, vcc, v15, v8, vcc
	v_mov_b32_e32 v15, s7
	v_add_co_u32_e32 v25, vcc, s3, v9
	v_addc_co_u32_e32 v26, vcc, v15, v10, vcc
	v_lshlrev_b64 v[9:10], 3, v[1:2]
	v_mov_b32_e32 v1, v12
	v_mad_u64_u32 v[15:16], s[20:21], s13, v66, v[1:2]
	v_mul_lo_u32 v1, s18, v65
	v_add_co_u32_e32 v9, vcc, v25, v9
	v_mov_b32_e32 v12, v15
	v_add_u16_e32 v15, 0x6f9, v0
	v_mul_u32_u24_e32 v16, 0x717, v15
	v_lshrrev_b32_e32 v67, 19, v16
	v_mul_lo_u16_e32 v16, 0x121, v67
	v_sub_u16_e32 v68, v15, v16
	v_mad_u64_u32 v[15:16], s[20:21], s12, v68, 0
	v_lshlrev_b64 v[11:12], 3, v[11:12]
	v_addc_co_u32_e32 v10, vcc, v26, v10, vcc
	v_mov_b32_e32 v25, s7
	v_add_co_u32_e32 v41, vcc, s3, v11
	v_addc_co_u32_e32 v42, vcc, v25, v12, vcc
	v_lshlrev_b64 v[11:12], 3, v[1:2]
	v_mov_b32_e32 v1, v16
	v_mad_u64_u32 v[25:26], s[20:21], s13, v68, v[1:2]
	v_mul_lo_u32 v1, s18, v67
	v_add_co_u32_e32 v11, vcc, v41, v11
	v_mov_b32_e32 v16, v25
	v_add_u16_e32 v25, 0x770, v0
	v_mul_u32_u24_e32 v26, 0x717, v25
	v_lshrrev_b32_e32 v69, 19, v26
	v_mul_lo_u16_e32 v26, 0x121, v69
	v_sub_u16_e32 v70, v25, v26
	v_mad_u64_u32 v[25:26], s[20:21], s12, v70, 0
	v_lshlrev_b64 v[15:16], 3, v[15:16]
	v_addc_co_u32_e32 v12, vcc, v42, v12, vcc
	v_mov_b32_e32 v41, s7
	v_add_co_u32_e32 v43, vcc, s3, v15
	v_addc_co_u32_e32 v44, vcc, v41, v16, vcc
	v_lshlrev_b64 v[15:16], 3, v[1:2]
	v_mov_b32_e32 v1, v26
	v_mad_u64_u32 v[41:42], s[12:13], s13, v70, v[1:2]
	v_add_co_u32_e32 v15, vcc, v43, v15
	v_mul_lo_u32 v1, s18, v69
	v_addc_co_u32_e32 v16, vcc, v44, v16, vcc
	v_mov_b32_e32 v26, v41
	global_load_dwordx2 v[41:42], v[7:8], off
	global_load_dwordx2 v[43:44], v[9:10], off
	v_lshlrev_b64 v[25:26], 3, v[25:26]
	v_mov_b32_e32 v71, s7
	v_add_co_u32_e32 v25, vcc, s3, v25
	v_lshlrev_b64 v[1:2], 3, v[1:2]
	v_addc_co_u32_e32 v26, vcc, v71, v26, vcc
	global_load_dwordx2 v[7:8], v[11:12], off
	global_load_dwordx2 v[9:10], v[15:16], off
	v_add_co_u32_e32 v1, vcc, v25, v1
	v_addc_co_u32_e32 v2, vcc, v26, v2, vcc
	global_load_dwordx2 v[1:2], v[1:2], off
	v_mul_lo_u16_e32 v11, 7, v0
	v_mov_b32_e32 v12, 0x341
	v_mad_legacy_u16 v3, v4, 7, v3
	v_lshl_add_u32 v11, v11, 3, 0
	v_mad_legacy_u16 v12, v0, 7, v12
	v_lshl_add_u32 v3, v3, 3, 0
	v_lshl_add_u32 v12, v12, 3, 0
	s_waitcnt vmcnt(16)
	ds_write_b64 v11, v[17:18]
	s_waitcnt vmcnt(15)
	ds_write_b64 v12, v[19:20]
	;; [unrolled: 2-line block ×3, first 2 shown]
	v_mad_legacy_u16 v3, v6, 7, v5
	v_lshl_add_u32 v3, v3, 3, 0
	s_waitcnt vmcnt(13)
	ds_write_b64 v3, v[23:24]
	v_mad_legacy_u16 v3, v46, 7, v45
	v_lshl_add_u32 v3, v3, 3, 0
	s_waitcnt vmcnt(12)
	ds_write_b64 v3, v[29:30]
	v_mad_legacy_u16 v3, v48, 7, v47
	v_lshl_add_u32 v3, v3, 3, 0
	s_waitcnt vmcnt(11)
	ds_write_b64 v3, v[31:32]
	v_mad_legacy_u16 v3, v50, 7, v49
	v_lshl_add_u32 v3, v3, 3, 0
	s_waitcnt vmcnt(10)
	ds_write_b64 v3, v[33:34]
	v_mad_legacy_u16 v3, v52, 7, v51
	v_lshl_add_u32 v3, v3, 3, 0
	s_waitcnt vmcnt(9)
	ds_write_b64 v3, v[35:36]
	v_mad_legacy_u16 v3, v54, 7, v53
	v_lshl_add_u32 v3, v3, 3, 0
	s_waitcnt vmcnt(8)
	ds_write_b64 v3, v[13:14]
	v_mad_legacy_u16 v3, v56, 7, v55
	v_lshl_add_u32 v3, v3, 3, 0
	s_waitcnt vmcnt(7)
	ds_write_b64 v3, v[27:28]
	v_mad_legacy_u16 v3, v58, 7, v57
	v_lshl_add_u32 v3, v3, 3, 0
	s_waitcnt vmcnt(6)
	ds_write_b64 v3, v[37:38]
	v_mad_legacy_u16 v3, v60, 7, v59
	v_lshl_add_u32 v3, v3, 3, 0
	s_waitcnt vmcnt(5)
	ds_write_b64 v3, v[39:40]
	v_mad_legacy_u16 v3, v62, 7, v61
	v_lshl_add_u32 v3, v3, 3, 0
	s_waitcnt vmcnt(4)
	ds_write_b64 v3, v[41:42]
	v_mad_legacy_u16 v3, v64, 7, v63
	v_lshl_add_u32 v3, v3, 3, 0
	s_waitcnt vmcnt(3)
	ds_write_b64 v3, v[43:44]
	v_mad_legacy_u16 v3, v66, 7, v65
	v_lshl_add_u32 v3, v3, 3, 0
	s_waitcnt vmcnt(2)
	ds_write_b64 v3, v[7:8]
	v_mad_legacy_u16 v3, v68, 7, v67
	v_lshl_add_u32 v3, v3, 3, 0
	s_waitcnt vmcnt(1)
	ds_write_b64 v3, v[9:10]
	v_mad_legacy_u16 v3, v70, 7, v69
	v_lshl_add_u32 v3, v3, 3, 0
	s_waitcnt vmcnt(0)
	ds_write_b64 v3, v[1:2]
.LBB0_10:
	s_movk_i32 s3, 0x2493
	v_mul_u32_u24_sdwa v1, v0, s3 dst_sel:DWORD dst_unused:UNUSED_PAD src0_sel:WORD_0 src1_sel:DWORD
	s_mov_b32 s3, 0x24924925
	v_mul_hi_u32 v23, v0, s3
	v_mov_b32_e32 v2, 7
	v_mul_lo_u16_sdwa v1, v1, v2 dst_sel:DWORD dst_unused:UNUSED_PAD src0_sel:WORD_1 src1_sel:DWORD
	v_sub_u16_e32 v21, v0, v1
	v_mul_u32_u24_e32 v1, 56, v23
	v_lshlrev_b32_e32 v30, 3, v21
	v_add3_u32 v22, 0, v1, v30
	s_waitcnt lgkmcnt(0)
	s_barrier
	ds_read2_b64 v[15:18], v22 offset1:119
	v_add_u32_e32 v1, 0x400, v22
	ds_read2_b64 v[31:34], v1 offset0:110 offset1:229
	v_add_u32_e32 v24, 0xc00, v22
	ds_read2_b64 v[35:38], v24 offset0:92 offset1:211
	;; [unrolled: 2-line block ×3, first 2 shown]
	s_waitcnt lgkmcnt(3)
	v_add_f32_e32 v13, v15, v17
	v_add_u32_e32 v26, 0x1c00, v22
	v_add_f32_e32 v14, v16, v18
	s_waitcnt lgkmcnt(2)
	v_add_f32_e32 v13, v13, v31
	ds_read2_b64 v[1:4], v26 offset0:56 offset1:175
	v_add_f32_e32 v14, v14, v32
	v_add_f32_e32 v13, v13, v33
	v_add_u32_e32 v28, 0x2400, v22
	v_add_f32_e32 v14, v14, v34
	s_waitcnt lgkmcnt(2)
	v_add_f32_e32 v13, v13, v35
	ds_read2_b64 v[9:12], v28 offset0:38 offset1:157
	v_add_f32_e32 v14, v14, v36
	;; [unrolled: 7-line block ×3, first 2 shown]
	v_add_f32_e32 v13, v13, v7
	v_add_f32_e32 v14, v14, v8
	s_waitcnt lgkmcnt(2)
	v_add_f32_e32 v13, v13, v1
	v_add_u32_e32 v27, 0x3000, v22
	v_add_f32_e32 v14, v14, v2
	v_add_f32_e32 v13, v13, v3
	ds_read2_b64 v[43:46], v27 offset0:130 offset1:249
	ds_read_b64 v[19:20], v22 offset:15232
	v_add_f32_e32 v14, v14, v4
	s_waitcnt lgkmcnt(3)
	v_add_f32_e32 v13, v13, v9
	v_add_f32_e32 v14, v14, v10
	v_add_f32_e32 v13, v13, v11
	v_add_f32_e32 v14, v14, v12
	s_waitcnt lgkmcnt(2)
	v_add_f32_e32 v13, v13, v39
	v_add_f32_e32 v14, v14, v40
	v_add_f32_e32 v13, v13, v41
	;; [unrolled: 5-line block ×3, first 2 shown]
	s_waitcnt lgkmcnt(0)
	v_add_f32_e32 v47, v19, v17
	v_add_f32_e32 v48, v20, v18
	v_sub_f32_e32 v17, v17, v19
	v_sub_f32_e32 v18, v18, v20
	v_add_f32_e32 v14, v14, v46
	v_add_f32_e32 v13, v13, v19
	v_mul_f32_e32 v19, 0xbeb8f4ab, v18
	s_mov_b32 s3, 0x3f6eb680
	v_mul_f32_e32 v49, 0xbeb8f4ab, v17
	v_mul_f32_e32 v51, 0xbf2c7751, v18
	s_mov_b32 s9, 0x3f3d2fb0
	v_mul_f32_e32 v53, 0xbf2c7751, v17
	;; [unrolled: 3-line block ×8, first 2 shown]
	v_add_f32_e32 v14, v14, v20
	v_fma_f32 v20, v47, s3, -v19
	v_mov_b32_e32 v50, v49
	v_fmac_f32_e32 v19, 0x3f6eb680, v47
	v_fma_f32 v52, v47, s9, -v51
	v_mov_b32_e32 v54, v53
	v_fmac_f32_e32 v51, 0x3f3d2fb0, v47
	;; [unrolled: 3-line block ×8, first 2 shown]
	v_add_f32_e32 v20, v15, v20
	v_fmac_f32_e32 v50, 0x3f6eb680, v48
	v_add_f32_e32 v19, v15, v19
	v_fma_f32 v49, v48, s3, -v49
	v_add_f32_e32 v52, v15, v52
	v_fmac_f32_e32 v54, 0x3f3d2fb0, v48
	v_add_f32_e32 v51, v15, v51
	v_fma_f32 v53, v48, s9, -v53
	;; [unrolled: 4-line block ×8, first 2 shown]
	v_add_f32_e32 v18, v46, v32
	v_sub_f32_e32 v32, v32, v46
	v_add_f32_e32 v50, v16, v50
	v_add_f32_e32 v49, v16, v49
	;; [unrolled: 1-line block ×17, first 2 shown]
	v_sub_f32_e32 v31, v31, v45
	v_mul_f32_e32 v45, 0xbf2c7751, v32
	v_fma_f32 v46, v17, s9, -v45
	v_add_f32_e32 v20, v46, v20
	v_mul_f32_e32 v46, 0xbf2c7751, v31
	v_fmac_f32_e32 v45, 0x3f3d2fb0, v17
	v_mov_b32_e32 v47, v46
	v_add_f32_e32 v19, v45, v19
	v_fma_f32 v45, v18, s9, -v46
	v_mul_f32_e32 v46, 0xbf7ee86f, v32
	v_fma_f32 v48, v17, s20, -v46
	v_fmac_f32_e32 v46, 0x3dbcf732, v17
	v_fmac_f32_e32 v47, 0x3f3d2fb0, v18
	v_add_f32_e32 v45, v45, v49
	v_mul_f32_e32 v49, 0xbf7ee86f, v31
	v_add_f32_e32 v46, v46, v51
	v_mul_f32_e32 v51, 0xbf4c4adb, v32
	v_add_f32_e32 v47, v47, v50
	v_add_f32_e32 v48, v48, v52
	v_mov_b32_e32 v50, v49
	v_fma_f32 v49, v18, s20, -v49
	v_fma_f32 v52, v17, s22, -v51
	v_fmac_f32_e32 v51, 0xbf1a4643, v17
	v_fmac_f32_e32 v50, 0x3dbcf732, v18
	v_add_f32_e32 v49, v49, v53
	v_mul_f32_e32 v53, 0xbf4c4adb, v31
	v_add_f32_e32 v51, v51, v55
	v_mul_f32_e32 v55, 0xbe3c28d5, v32
	v_add_f32_e32 v50, v50, v54
	v_add_f32_e32 v52, v52, v56
	v_mov_b32_e32 v54, v53
	v_fma_f32 v53, v18, s22, -v53
	;; [unrolled: 11-line block ×5, first 2 shown]
	v_fma_f32 v68, v17, s18, -v67
	v_fmac_f32_e32 v67, 0x3ee437d1, v17
	v_mul_f32_e32 v32, 0x3eb8f4ab, v32
	v_add_f32_e32 v65, v65, v69
	v_mul_f32_e32 v69, 0x3f65296c, v31
	v_add_f32_e32 v67, v67, v71
	v_fma_f32 v71, v17, s3, -v32
	v_mul_f32_e32 v31, 0x3eb8f4ab, v31
	v_fmac_f32_e32 v32, 0x3f6eb680, v17
	v_fmac_f32_e32 v66, 0xbe8c1d8e, v18
	v_add_f32_e32 v15, v32, v15
	v_fma_f32 v17, v18, s3, -v31
	v_sub_f32_e32 v32, v34, v44
	v_add_f32_e32 v66, v66, v70
	v_add_f32_e32 v68, v68, v72
	v_mov_b32_e32 v70, v69
	v_mov_b32_e32 v72, v31
	v_add_f32_e32 v16, v17, v16
	v_add_f32_e32 v17, v43, v33
	v_sub_f32_e32 v31, v33, v43
	v_mul_f32_e32 v33, 0xbf65296c, v32
	v_fmac_f32_e32 v70, 0x3ee437d1, v18
	v_fma_f32 v69, v18, s18, -v69
	v_fmac_f32_e32 v72, 0x3f6eb680, v18
	v_add_f32_e32 v18, v44, v34
	v_fma_f32 v34, v17, s18, -v33
	v_add_f32_e32 v20, v34, v20
	v_mul_f32_e32 v34, 0xbf65296c, v31
	v_fmac_f32_e32 v33, 0x3ee437d1, v17
	v_mov_b32_e32 v43, v34
	v_add_f32_e32 v19, v33, v19
	v_fma_f32 v33, v18, s18, -v34
	v_mul_f32_e32 v34, 0xbf4c4adb, v32
	v_fma_f32 v44, v17, s22, -v34
	v_fmac_f32_e32 v34, 0xbf1a4643, v17
	v_fmac_f32_e32 v43, 0x3ee437d1, v18
	v_add_f32_e32 v33, v33, v45
	v_mul_f32_e32 v45, 0xbf4c4adb, v31
	v_add_f32_e32 v34, v34, v46
	v_mul_f32_e32 v46, 0x3e3c28d5, v32
	v_add_f32_e32 v43, v43, v47
	v_add_f32_e32 v44, v44, v48
	v_mov_b32_e32 v47, v45
	v_fma_f32 v45, v18, s22, -v45
	v_fma_f32 v48, v17, s24, -v46
	v_fmac_f32_e32 v46, 0xbf7ba420, v17
	v_fmac_f32_e32 v47, 0xbf1a4643, v18
	v_add_f32_e32 v45, v45, v49
	v_mul_f32_e32 v49, 0x3e3c28d5, v31
	v_add_f32_e32 v46, v46, v51
	v_mul_f32_e32 v51, 0x3f763a35, v32
	v_add_f32_e32 v47, v47, v50
	v_add_f32_e32 v48, v48, v52
	v_mov_b32_e32 v50, v49
	v_fma_f32 v49, v18, s24, -v49
	;; [unrolled: 11-line block ×5, first 2 shown]
	v_fma_f32 v64, v17, s20, -v63
	v_fmac_f32_e32 v63, 0x3dbcf732, v17
	v_mul_f32_e32 v32, 0xbf06c442, v32
	v_add_f32_e32 v61, v61, v65
	v_mul_f32_e32 v65, 0xbf7ee86f, v31
	v_add_f32_e32 v63, v63, v67
	v_fma_f32 v67, v17, s23, -v32
	v_mul_f32_e32 v31, 0xbf06c442, v31
	v_fmac_f32_e32 v32, 0xbf59a7d5, v17
	v_fmac_f32_e32 v62, 0x3f6eb680, v18
	v_add_f32_e32 v15, v32, v15
	v_fma_f32 v17, v18, s23, -v31
	v_sub_f32_e32 v32, v36, v42
	v_add_f32_e32 v62, v62, v66
	v_add_f32_e32 v64, v64, v68
	v_mov_b32_e32 v66, v65
	v_mov_b32_e32 v68, v31
	v_add_f32_e32 v16, v17, v16
	v_add_f32_e32 v17, v41, v35
	v_sub_f32_e32 v31, v35, v41
	v_mul_f32_e32 v35, 0xbf7ee86f, v32
	v_fmac_f32_e32 v66, 0x3dbcf732, v18
	v_fma_f32 v65, v18, s20, -v65
	v_fmac_f32_e32 v68, 0xbf59a7d5, v18
	v_add_f32_e32 v18, v42, v36
	v_fma_f32 v36, v17, s20, -v35
	v_add_f32_e32 v20, v36, v20
	v_mul_f32_e32 v36, 0xbf7ee86f, v31
	v_fmac_f32_e32 v35, 0x3dbcf732, v17
	v_add_f32_e32 v19, v35, v19
	v_fma_f32 v35, v18, s20, -v36
	v_mov_b32_e32 v41, v36
	v_add_f32_e32 v33, v35, v33
	v_mul_f32_e32 v35, 0xbe3c28d5, v32
	v_fmac_f32_e32 v41, 0x3dbcf732, v18
	v_fma_f32 v36, v17, s24, -v35
	v_mul_f32_e32 v42, 0xbe3c28d5, v31
	v_fmac_f32_e32 v35, 0xbf7ba420, v17
	v_add_f32_e32 v41, v41, v43
	v_mov_b32_e32 v43, v42
	v_add_f32_e32 v34, v35, v34
	v_fma_f32 v35, v18, s24, -v42
	v_mul_f32_e32 v42, 0x3f763a35, v32
	v_add_f32_e32 v36, v36, v44
	v_fma_f32 v44, v17, s21, -v42
	v_fmac_f32_e32 v42, 0xbe8c1d8e, v17
	v_fmac_f32_e32 v43, 0xbf7ba420, v18
	v_add_f32_e32 v35, v35, v45
	v_mul_f32_e32 v45, 0x3f763a35, v31
	v_add_f32_e32 v42, v42, v46
	v_mul_f32_e32 v46, 0x3eb8f4ab, v32
	v_add_f32_e32 v43, v43, v47
	v_add_f32_e32 v44, v44, v48
	v_mov_b32_e32 v47, v45
	v_fma_f32 v45, v18, s21, -v45
	v_fma_f32 v48, v17, s3, -v46
	v_fmac_f32_e32 v46, 0x3f6eb680, v17
	v_fmac_f32_e32 v47, 0xbe8c1d8e, v18
	v_add_f32_e32 v45, v45, v49
	v_mul_f32_e32 v49, 0x3eb8f4ab, v31
	v_add_f32_e32 v46, v46, v51
	v_mul_f32_e32 v51, 0xbf65296c, v32
	v_add_f32_e32 v47, v47, v50
	v_add_f32_e32 v48, v48, v52
	v_mov_b32_e32 v50, v49
	v_fma_f32 v49, v18, s3, -v49
	;; [unrolled: 11-line block ×3, first 2 shown]
	v_fma_f32 v56, v17, s23, -v55
	v_fmac_f32_e32 v55, 0xbf59a7d5, v17
	v_fmac_f32_e32 v54, 0x3ee437d1, v18
	v_add_f32_e32 v53, v53, v57
	v_mul_f32_e32 v57, 0xbf06c442, v31
	v_add_f32_e32 v55, v55, v59
	v_mul_f32_e32 v59, 0x3f4c4adb, v32
	v_add_f32_e32 v70, v70, v74
	v_add_f32_e32 v71, v71, v75
	;; [unrolled: 1-line block ×4, first 2 shown]
	v_mov_b32_e32 v58, v57
	v_fma_f32 v57, v18, s23, -v57
	v_fma_f32 v60, v17, s22, -v59
	v_fmac_f32_e32 v59, 0xbf1a4643, v17
	v_mul_f32_e32 v32, 0x3f2c7751, v32
	v_add_f32_e32 v69, v69, v73
	v_add_f32_e32 v66, v66, v70
	;; [unrolled: 1-line block ×3, first 2 shown]
	v_fmac_f32_e32 v58, 0xbf59a7d5, v18
	v_add_f32_e32 v57, v57, v61
	v_mul_f32_e32 v61, 0x3f4c4adb, v31
	v_add_f32_e32 v59, v59, v63
	v_fma_f32 v63, v17, s9, -v32
	v_sub_f32_e32 v70, v38, v40
	v_add_f32_e32 v65, v65, v69
	v_add_f32_e32 v58, v58, v62
	v_mov_b32_e32 v62, v61
	v_fma_f32 v61, v18, s22, -v61
	v_add_f32_e32 v63, v63, v67
	v_mul_f32_e32 v31, 0x3f2c7751, v31
	v_fmac_f32_e32 v32, 0x3f3d2fb0, v17
	v_add_f32_e32 v67, v39, v37
	v_sub_f32_e32 v69, v37, v39
	v_mul_f32_e32 v39, 0xbf65296c, v70
	v_add_f32_e32 v72, v72, v76
	v_add_f32_e32 v60, v60, v64
	v_fmac_f32_e32 v62, 0xbf1a4643, v18
	v_add_f32_e32 v61, v61, v65
	v_mov_b32_e32 v64, v31
	v_add_f32_e32 v65, v32, v15
	v_fma_f32 v15, v18, s9, -v31
	v_mul_f32_e32 v17, 0xbf763a35, v70
	v_fma_f32 v37, v67, s18, -v39
	v_add_f32_e32 v68, v68, v72
	v_add_f32_e32 v62, v62, v66
	v_fmac_f32_e32 v64, 0x3f3d2fb0, v18
	v_add_f32_e32 v66, v15, v16
	v_fma_f32 v15, v67, s21, -v17
	v_mul_f32_e32 v32, 0x3f06c442, v69
	v_add_f32_e32 v37, v37, v48
	v_fmac_f32_e32 v39, 0x3ee437d1, v67
	v_mul_f32_e32 v48, 0x3f7ee86f, v69
	v_add_f32_e32 v64, v64, v68
	v_add_f32_e32 v68, v40, v38
	v_add_f32_e32 v15, v15, v20
	v_mul_f32_e32 v18, 0xbf763a35, v69
	v_mov_b32_e32 v20, v32
	v_add_f32_e32 v39, v39, v46
	v_mov_b32_e32 v46, v48
	v_mov_b32_e32 v16, v18
	v_fmac_f32_e32 v20, 0xbf59a7d5, v68
	v_fmac_f32_e32 v46, 0x3dbcf732, v68
	;; [unrolled: 1-line block ×3, first 2 shown]
	v_add_f32_e32 v20, v20, v43
	v_mul_f32_e32 v43, 0xbe3c28d5, v70
	v_add_f32_e32 v46, v46, v58
	v_fma_f32 v48, v68, s20, -v48
	v_add_f32_e32 v58, v12, v6
	v_sub_f32_e32 v6, v6, v12
	v_add_f32_e32 v16, v16, v41
	v_mul_f32_e32 v40, 0xbf65296c, v69
	v_fma_f32 v41, v67, s24, -v43
	v_fmac_f32_e32 v43, 0xbf7ba420, v67
	v_add_f32_e32 v48, v48, v57
	v_add_f32_e32 v57, v11, v5
	v_sub_f32_e32 v5, v5, v11
	v_mul_f32_e32 v11, 0xbf4c4adb, v6
	v_fmac_f32_e32 v17, 0xbe8c1d8e, v67
	v_mov_b32_e32 v38, v40
	v_fma_f32 v40, v68, s18, -v40
	v_add_f32_e32 v43, v43, v51
	v_mul_f32_e32 v51, 0xbeb8f4ab, v70
	v_fma_f32 v12, v57, s22, -v11
	v_add_f32_e32 v17, v17, v19
	v_fma_f32 v18, v68, s21, -v18
	v_mul_f32_e32 v31, 0x3f06c442, v70
	v_add_f32_e32 v40, v40, v49
	v_fma_f32 v49, v67, s3, -v51
	v_fmac_f32_e32 v51, 0x3f6eb680, v67
	v_add_f32_e32 v12, v12, v15
	v_mul_f32_e32 v15, 0xbf4c4adb, v5
	v_fmac_f32_e32 v11, 0xbf1a4643, v57
	v_add_f32_e32 v18, v18, v33
	v_fma_f32 v19, v67, s23, -v31
	v_add_f32_e32 v51, v51, v59
	v_mov_b32_e32 v59, v15
	v_add_f32_e32 v11, v11, v17
	v_fma_f32 v15, v58, s22, -v15
	v_mul_f32_e32 v17, 0x3f763a35, v6
	v_add_f32_e32 v19, v19, v36
	v_fmac_f32_e32 v31, 0xbf59a7d5, v67
	v_fma_f32 v32, v68, s23, -v32
	v_add_f32_e32 v15, v15, v18
	v_fma_f32 v18, v57, s21, -v17
	v_add_f32_e32 v31, v31, v34
	v_add_f32_e32 v32, v32, v35
	v_mul_f32_e32 v35, 0x3f2c7751, v70
	v_fmac_f32_e32 v59, 0xbf1a4643, v58
	v_add_f32_e32 v18, v18, v19
	v_mul_f32_e32 v19, 0x3f763a35, v5
	v_fmac_f32_e32 v17, 0xbe8c1d8e, v57
	v_fma_f32 v33, v67, s9, -v35
	v_add_f32_e32 v16, v59, v16
	v_mov_b32_e32 v59, v19
	v_add_f32_e32 v17, v17, v31
	v_fma_f32 v19, v58, s21, -v19
	v_mul_f32_e32 v31, 0xbeb8f4ab, v6
	v_add_f32_e32 v33, v33, v44
	v_mul_f32_e32 v36, 0x3f2c7751, v69
	v_fmac_f32_e32 v35, 0x3f3d2fb0, v67
	v_add_f32_e32 v19, v19, v32
	v_fma_f32 v32, v57, s3, -v31
	v_mov_b32_e32 v34, v36
	v_add_f32_e32 v35, v35, v42
	v_fma_f32 v36, v68, s9, -v36
	v_fmac_f32_e32 v59, 0xbe8c1d8e, v58
	v_add_f32_e32 v32, v32, v33
	v_mul_f32_e32 v33, 0xbeb8f4ab, v5
	v_fmac_f32_e32 v31, 0x3f6eb680, v57
	v_add_f32_e32 v36, v36, v45
	v_add_f32_e32 v20, v59, v20
	v_mov_b32_e32 v59, v33
	v_add_f32_e32 v31, v31, v35
	v_fma_f32 v33, v58, s3, -v33
	v_mul_f32_e32 v35, 0xbf06c442, v6
	v_fmac_f32_e32 v34, 0x3f3d2fb0, v68
	v_add_f32_e32 v33, v33, v36
	v_fma_f32 v36, v57, s23, -v35
	v_add_f32_e32 v34, v34, v47
	v_fmac_f32_e32 v59, 0x3f6eb680, v58
	v_add_f32_e32 v36, v36, v37
	v_mul_f32_e32 v37, 0xbf06c442, v5
	v_fmac_f32_e32 v35, 0xbf59a7d5, v57
	v_add_f32_e32 v34, v59, v34
	v_mov_b32_e32 v59, v37
	v_add_f32_e32 v35, v35, v39
	v_fma_f32 v37, v58, s23, -v37
	v_mul_f32_e32 v39, 0x3f7ee86f, v6
	v_fmac_f32_e32 v38, 0x3ee437d1, v68
	v_add_f32_e32 v41, v41, v52
	v_mul_f32_e32 v44, 0xbe3c28d5, v69
	v_add_f32_e32 v37, v37, v40
	v_fma_f32 v40, v57, s20, -v39
	v_add_f32_e32 v38, v38, v50
	v_mov_b32_e32 v42, v44
	v_fma_f32 v44, v68, s24, -v44
	v_mul_f32_e32 v47, 0x3f7ee86f, v70
	v_fmac_f32_e32 v59, 0xbf59a7d5, v58
	v_add_f32_e32 v40, v40, v41
	v_mul_f32_e32 v41, 0x3f7ee86f, v5
	v_fmac_f32_e32 v39, 0x3dbcf732, v57
	v_add_f32_e32 v44, v44, v53
	v_fma_f32 v45, v67, s20, -v47
	v_add_f32_e32 v38, v59, v38
	v_mov_b32_e32 v59, v41
	v_add_f32_e32 v39, v39, v43
	v_fma_f32 v41, v58, s20, -v41
	v_mul_f32_e32 v43, 0xbf2c7751, v6
	v_fmac_f32_e32 v42, 0xbf7ba420, v68
	v_add_f32_e32 v45, v45, v56
	v_fmac_f32_e32 v47, 0x3dbcf732, v67
	v_add_f32_e32 v41, v41, v44
	v_fma_f32 v44, v57, s9, -v43
	v_add_f32_e32 v42, v42, v54
	v_add_f32_e32 v47, v47, v55
	v_fmac_f32_e32 v59, 0x3dbcf732, v58
	v_add_f32_e32 v44, v44, v45
	v_mul_f32_e32 v45, 0xbf2c7751, v5
	v_fmac_f32_e32 v43, 0x3f3d2fb0, v57
	v_add_f32_e32 v42, v59, v42
	v_mov_b32_e32 v59, v45
	v_add_f32_e32 v43, v43, v47
	v_fma_f32 v45, v58, s9, -v45
	v_mul_f32_e32 v47, 0xbe3c28d5, v6
	v_add_f32_e32 v49, v49, v60
	v_mul_f32_e32 v52, 0xbeb8f4ab, v69
	v_add_f32_e32 v45, v45, v48
	v_fma_f32 v48, v57, s24, -v47
	v_mov_b32_e32 v50, v52
	v_fma_f32 v52, v68, s3, -v52
	v_mul_f32_e32 v56, 0xbf4c4adb, v69
	v_fmac_f32_e32 v59, 0x3f3d2fb0, v58
	v_add_f32_e32 v48, v48, v49
	v_mul_f32_e32 v49, 0xbe3c28d5, v5
	v_add_f32_e32 v52, v52, v61
	v_mov_b32_e32 v54, v56
	v_add_f32_e32 v46, v59, v46
	v_mov_b32_e32 v59, v49
	v_fma_f32 v49, v58, s24, -v49
	v_mul_f32_e32 v5, 0x3f65296c, v5
	v_mul_f32_e32 v55, 0xbf4c4adb, v70
	v_fmac_f32_e32 v54, 0xbf1a4643, v68
	v_add_f32_e32 v49, v49, v52
	v_mov_b32_e32 v52, v5
	v_fma_f32 v53, v67, s22, -v55
	v_add_f32_e32 v54, v54, v64
	v_fmac_f32_e32 v47, 0xbf7ba420, v57
	v_mul_f32_e32 v6, 0x3f65296c, v6
	v_fmac_f32_e32 v52, 0x3ee437d1, v58
	v_add_f32_e32 v53, v53, v63
	v_add_f32_e32 v47, v47, v51
	v_fma_f32 v51, v57, s18, -v6
	v_add_f32_e32 v52, v52, v54
	v_add_f32_e32 v54, v10, v8
	v_sub_f32_e32 v8, v8, v10
	v_add_f32_e32 v51, v51, v53
	v_add_f32_e32 v53, v9, v7
	v_sub_f32_e32 v7, v7, v9
	v_mul_f32_e32 v9, 0xbf06c442, v8
	v_fmac_f32_e32 v55, 0xbf1a4643, v67
	v_fma_f32 v10, v53, s23, -v9
	v_add_f32_e32 v55, v55, v65
	v_fmac_f32_e32 v6, 0x3ee437d1, v57
	v_add_f32_e32 v10, v10, v12
	v_mul_f32_e32 v12, 0xbf06c442, v7
	v_fmac_f32_e32 v9, 0xbf59a7d5, v53
	v_add_f32_e32 v6, v6, v55
	v_mov_b32_e32 v55, v12
	v_add_f32_e32 v9, v9, v11
	v_fma_f32 v11, v54, s23, -v12
	v_mul_f32_e32 v12, 0x3f65296c, v8
	v_add_f32_e32 v11, v11, v15
	v_fma_f32 v15, v53, s18, -v12
	v_fmac_f32_e32 v55, 0xbf59a7d5, v54
	v_add_f32_e32 v15, v15, v18
	v_mul_f32_e32 v18, 0x3f65296c, v7
	v_fmac_f32_e32 v12, 0x3ee437d1, v53
	v_add_f32_e32 v16, v55, v16
	v_mov_b32_e32 v55, v18
	v_add_f32_e32 v12, v12, v17
	v_fma_f32 v17, v54, s18, -v18
	v_mul_f32_e32 v18, 0xbf7ee86f, v8
	v_add_f32_e32 v17, v17, v19
	v_fma_f32 v19, v53, s20, -v18
	v_fma_f32 v56, v68, s22, -v56
	v_add_f32_e32 v19, v19, v32
	v_mul_f32_e32 v32, 0xbf7ee86f, v7
	v_fmac_f32_e32 v18, 0x3dbcf732, v53
	v_add_f32_e32 v56, v56, v66
	v_fma_f32 v5, v58, s18, -v5
	v_add_f32_e32 v18, v18, v31
	v_fma_f32 v31, v54, s20, -v32
	v_add_f32_e32 v5, v5, v56
	v_fmac_f32_e32 v55, 0x3ee437d1, v54
	v_add_f32_e32 v56, v31, v33
	v_mul_f32_e32 v31, 0x3f4c4adb, v8
	v_add_f32_e32 v20, v55, v20
	v_mov_b32_e32 v55, v32
	v_fma_f32 v32, v53, s22, -v31
	v_fmac_f32_e32 v50, 0x3f6eb680, v68
	v_add_f32_e32 v57, v32, v36
	v_mul_f32_e32 v32, 0x3f4c4adb, v7
	v_fmac_f32_e32 v31, 0xbf1a4643, v53
	v_add_f32_e32 v50, v50, v62
	v_fmac_f32_e32 v59, 0xbf7ba420, v58
	v_add_f32_e32 v58, v31, v35
	v_fma_f32 v31, v54, s22, -v32
	v_add_f32_e32 v50, v59, v50
	v_add_f32_e32 v59, v31, v37
	v_mul_f32_e32 v31, 0xbeb8f4ab, v8
	v_mov_b32_e32 v33, v32
	v_fma_f32 v32, v53, s3, -v31
	v_add_f32_e32 v40, v32, v40
	v_mul_f32_e32 v32, 0xbeb8f4ab, v7
	v_fmac_f32_e32 v31, 0x3f6eb680, v53
	v_add_f32_e32 v60, v31, v39
	v_fma_f32 v31, v54, s3, -v32
	v_fmac_f32_e32 v33, 0xbf1a4643, v54
	v_add_f32_e32 v41, v31, v41
	v_mul_f32_e32 v31, 0xbe3c28d5, v8
	v_add_f32_e32 v38, v33, v38
	v_mov_b32_e32 v33, v32
	v_fma_f32 v32, v53, s24, -v31
	v_add_f32_e32 v44, v32, v44
	v_mul_f32_e32 v32, 0xbe3c28d5, v7
	v_fmac_f32_e32 v31, 0xbf7ba420, v53
	v_add_f32_e32 v43, v31, v43
	v_fma_f32 v31, v54, s24, -v32
	v_fmac_f32_e32 v33, 0x3f6eb680, v54
	v_add_f32_e32 v45, v31, v45
	v_mul_f32_e32 v31, 0x3f2c7751, v8
	v_add_f32_e32 v42, v33, v42
	v_mov_b32_e32 v33, v32
	v_fma_f32 v32, v53, s9, -v31
	v_add_f32_e32 v48, v32, v48
	v_mul_f32_e32 v32, 0x3f2c7751, v7
	v_fmac_f32_e32 v31, 0x3f3d2fb0, v53
	v_add_f32_e32 v47, v31, v47
	v_fma_f32 v31, v54, s9, -v32
	v_mul_f32_e32 v8, 0xbf763a35, v8
	v_add_f32_e32 v49, v31, v49
	v_fma_f32 v31, v53, s21, -v8
	v_mul_f32_e32 v7, 0xbf763a35, v7
	v_sub_f32_e32 v64, v2, v4
	v_add_f32_e32 v51, v31, v51
	v_mov_b32_e32 v31, v7
	v_add_f32_e32 v61, v3, v1
	v_sub_f32_e32 v63, v1, v3
	v_mul_f32_e32 v1, 0xbe3c28d5, v64
	v_fmac_f32_e32 v31, 0xbe8c1d8e, v54
	v_add_f32_e32 v62, v4, v2
	v_fma_f32 v2, v61, s24, -v1
	v_add_f32_e32 v52, v31, v52
	v_add_f32_e32 v31, v2, v10
	v_mul_f32_e32 v2, 0xbe3c28d5, v63
	v_mov_b32_e32 v3, v2
	v_fmac_f32_e32 v33, 0xbf7ba420, v54
	v_fmac_f32_e32 v3, 0xbf7ba420, v62
	v_add_f32_e32 v46, v33, v46
	v_mov_b32_e32 v33, v32
	v_add_f32_e32 v32, v3, v16
	v_mul_f32_e32 v3, 0x3eb8f4ab, v64
	v_fmac_f32_e32 v33, 0x3f3d2fb0, v54
	v_fmac_f32_e32 v8, 0xbe8c1d8e, v53
	v_fma_f32 v4, v61, s3, -v3
	v_add_f32_e32 v50, v33, v50
	v_add_f32_e32 v53, v8, v6
	v_fma_f32 v6, v54, s21, -v7
	v_add_f32_e32 v33, v4, v15
	v_mul_f32_e32 v4, 0x3eb8f4ab, v63
	v_fmac_f32_e32 v55, 0x3dbcf732, v54
	v_add_f32_e32 v54, v6, v5
	v_mov_b32_e32 v5, v4
	v_fmac_f32_e32 v5, 0x3f6eb680, v62
	v_add_f32_e32 v55, v55, v34
	v_add_f32_e32 v34, v5, v20
	v_mul_f32_e32 v5, 0xbf06c442, v64
	v_fma_f32 v6, v61, s23, -v5
	v_add_f32_e32 v35, v6, v19
	v_mul_f32_e32 v6, 0xbf06c442, v63
	v_mov_b32_e32 v7, v6
	v_fmac_f32_e32 v7, 0xbf59a7d5, v62
	v_add_f32_e32 v36, v7, v55
	v_mul_f32_e32 v7, 0x3f2c7751, v64
	v_fma_f32 v8, v61, s9, -v7
	v_fmac_f32_e32 v1, 0xbf7ba420, v61
	v_add_f32_e32 v37, v8, v57
	v_mul_f32_e32 v8, 0x3f2c7751, v63
	v_add_f32_e32 v1, v1, v9
	v_mov_b32_e32 v9, v8
	v_fmac_f32_e32 v9, 0x3f3d2fb0, v62
	v_add_f32_e32 v38, v9, v38
	v_mul_f32_e32 v9, 0xbf4c4adb, v64
	v_fma_f32 v10, v61, s22, -v9
	v_fma_f32 v2, v62, s24, -v2
	v_add_f32_e32 v39, v10, v40
	v_mul_f32_e32 v10, 0xbf4c4adb, v63
	v_add_f32_e32 v2, v2, v11
	v_mov_b32_e32 v11, v10
	v_fmac_f32_e32 v11, 0xbf1a4643, v62
	v_fmac_f32_e32 v3, 0x3f6eb680, v61
	v_add_f32_e32 v40, v11, v42
	v_mul_f32_e32 v11, 0x3f65296c, v64
	v_add_f32_e32 v3, v3, v12
	v_fma_f32 v10, v62, s22, -v10
	v_fma_f32 v12, v61, s18, -v11
	v_add_f32_e32 v10, v10, v41
	v_add_f32_e32 v41, v12, v44
	v_mul_f32_e32 v12, 0x3f65296c, v63
	v_mov_b32_e32 v15, v12
	v_fmac_f32_e32 v15, 0x3ee437d1, v62
	v_add_f32_e32 v42, v15, v46
	v_mul_f32_e32 v15, 0xbf763a35, v64
	v_fmac_f32_e32 v11, 0x3ee437d1, v61
	v_fma_f32 v16, v61, s21, -v15
	v_fma_f32 v4, v62, s3, -v4
	v_add_f32_e32 v11, v11, v43
	v_add_f32_e32 v43, v16, v48
	v_mul_f32_e32 v16, 0xbf763a35, v63
	v_add_f32_e32 v4, v4, v17
	v_fmac_f32_e32 v5, 0xbf59a7d5, v61
	v_fma_f32 v12, v62, s18, -v12
	v_mov_b32_e32 v17, v16
	v_mul_f32_e32 v20, 0x3f7ee86f, v63
	v_add_f32_e32 v5, v5, v18
	v_add_f32_e32 v12, v12, v45
	v_fmac_f32_e32 v17, 0xbe8c1d8e, v62
	v_mul_f32_e32 v19, 0x3f7ee86f, v64
	v_mov_b32_e32 v18, v20
	v_mul_u32_u24_e32 v45, 0x3b8, v23
	v_fma_f32 v6, v62, s23, -v6
	v_fmac_f32_e32 v7, 0x3f3d2fb0, v61
	v_fma_f32 v8, v62, s9, -v8
	v_fmac_f32_e32 v9, 0xbf1a4643, v61
	v_add_f32_e32 v44, v17, v50
	v_fmac_f32_e32 v15, 0xbe8c1d8e, v61
	v_fma_f32 v16, v62, s21, -v16
	v_fma_f32 v17, v61, s20, -v19
	v_fmac_f32_e32 v18, 0x3dbcf732, v62
	v_fmac_f32_e32 v19, 0x3dbcf732, v61
	v_fma_f32 v20, v62, s20, -v20
	v_add3_u32 v30, 0, v45, v30
	v_add_f32_e32 v6, v6, v56
	v_add_f32_e32 v7, v7, v58
	;; [unrolled: 1-line block ×10, first 2 shown]
	s_barrier
	ds_write2_b64 v30, v[13:14], v[31:32] offset1:7
	ds_write2_b64 v30, v[33:34], v[35:36] offset0:14 offset1:21
	ds_write2_b64 v30, v[37:38], v[39:40] offset0:28 offset1:35
	;; [unrolled: 1-line block ×7, first 2 shown]
	ds_write_b64 v30, v[1:2] offset:896
	v_add_u32_e32 v1, s26, v21
	v_cmp_gt_u32_e32 vcc, s10, v1
	s_mov_b32 s7, 0
	s_or_b64 s[10:11], s[16:17], vcc
	s_waitcnt lgkmcnt(0)
	s_barrier
	s_and_saveexec_b64 s[12:13], s[10:11]
	s_cbranch_execz .LBB0_12
; %bb.11:
	s_mov_b32 s10, 0xf0f0f10
	v_mul_hi_u32 v1, v23, s10
	s_load_dwordx2 s[10:11], s[4:5], 0x0
	s_load_dwordx2 s[12:13], s[4:5], 0x60
	s_mul_hi_u32 s4, s0, s26
	s_mul_i32 s6, s6, s8
	v_mul_u32_u24_e32 v1, 17, v1
	v_sub_u32_e32 v23, v23, v1
	v_lshlrev_b32_e32 v30, 7, v23
	s_waitcnt lgkmcnt(0)
	global_load_dwordx4 v[1:4], v30, s[10:11] offset:48
	global_load_dwordx4 v[5:8], v30, s[10:11] offset:64
	;; [unrolled: 1-line block ×6, first 2 shown]
	ds_read2_b64 v[38:41], v26 offset0:56 offset1:175
	ds_read2_b64 v[51:54], v25 offset0:74 offset1:193
	;; [unrolled: 1-line block ×5, first 2 shown]
	global_load_dwordx4 v[71:74], v30, s[10:11]
	global_load_dwordx4 v[77:80], v30, s[10:11] offset:112
	v_add_u32_e32 v24, 0x800, v22
	ds_read2_b64 v[81:84], v27 offset0:130 offset1:249
	ds_read2_b32 v[67:68], v24 offset0:202 offset1:203
	s_mul_hi_u32 s8, s14, s19
	s_waitcnt vmcnt(7) lgkmcnt(5)
	v_mul_f32_e32 v27, v53, v2
	v_mul_f32_e32 v2, v54, v2
	v_fmac_f32_e32 v27, v54, v1
	v_fma_f32 v35, v53, v1, -v2
	ds_read_b64 v[1:2], v22 offset:1904
	s_waitcnt vmcnt(6)
	v_mul_f32_e32 v25, v40, v6
	v_mul_f32_e32 v6, v41, v6
	s_waitcnt vmcnt(5)
	v_mul_f32_e32 v32, v51, v12
	v_mul_f32_e32 v12, v52, v12
	v_fmac_f32_e32 v25, v41, v5
	v_fma_f32 v31, v40, v5, -v6
	ds_read_b64 v[5:6], v22 offset:15232
	v_fma_f32 v40, v51, v11, -v12
	s_waitcnt vmcnt(1) lgkmcnt(1)
	v_mul_f32_e32 v51, v74, v1
	v_mul_f32_e32 v24, v38, v4
	;; [unrolled: 1-line block ×3, first 2 shown]
	v_fmac_f32_e32 v51, v73, v2
	v_mul_f32_e32 v2, v74, v2
	v_mul_f32_e32 v33, v65, v48
	;; [unrolled: 1-line block ×5, first 2 shown]
	v_fmac_f32_e32 v24, v39, v3
	v_fma_f32 v30, v38, v3, -v4
	v_fma_f32 v50, v73, v1, -v2
	ds_read2_b64 v[1:4], v22 offset1:119
	v_mul_f32_e32 v26, v55, v8
	v_mul_f32_e32 v8, v56, v8
	v_fma_f32 v34, v55, v7, -v8
	v_fmac_f32_e32 v32, v52, v11
	s_waitcnt lgkmcnt(0)
	v_mul_f32_e32 v55, v72, v3
	s_waitcnt vmcnt(0)
	v_mul_f32_e32 v52, v5, v80
	v_fma_f32 v39, v65, v47, -v43
	v_fmac_f32_e32 v37, v82, v49
	v_fma_f32 v43, v81, v49, -v48
	v_mul_f32_e32 v49, v83, v78
	v_fmac_f32_e32 v55, v71, v4
	v_fmac_f32_e32 v52, v6, v79
	v_mul_f32_e32 v4, v72, v4
	v_mul_f32_e32 v42, v59, v20
	;; [unrolled: 1-line block ×5, first 2 shown]
	v_fmac_f32_e32 v49, v84, v77
	v_add_f32_e32 v81, v55, v52
	v_fma_f32 v53, v71, v3, -v4
	v_mul_f32_e32 v3, v6, v80
	v_mul_f32_e32 v29, v63, v16
	v_fmac_f32_e32 v42, v60, v19
	v_fmac_f32_e32 v33, v66, v47
	v_fma_f32 v46, v59, v19, -v20
	v_fmac_f32_e32 v45, v68, v17
	v_fma_f32 v47, v17, v67, -v18
	v_add_f32_e32 v76, v51, v49
	v_mul_f32_e32 v18, v84, v78
	v_mul_f32_e32 v19, 0xbf7ba420, v81
	v_fma_f32 v48, v5, v79, -v3
	v_mul_f32_e32 v36, v61, v10
	v_mul_f32_e32 v16, v64, v16
	v_fmac_f32_e32 v29, v64, v15
	v_add_f32_e32 v70, v45, v37
	v_mul_f32_e32 v17, 0x3f6eb680, v76
	v_fma_f32 v22, v83, v77, -v18
	v_sub_f32_e32 v64, v53, v48
	v_mov_b32_e32 v3, v19
	v_mul_f32_e32 v28, v57, v14
	v_mul_f32_e32 v10, v62, v10
	v_fmac_f32_e32 v36, v62, v9
	v_add_f32_e32 v69, v42, v33
	v_mul_f32_e32 v11, 0xbf59a7d5, v70
	v_sub_f32_e32 v60, v50, v22
	v_mov_b32_e32 v18, v17
	v_fmac_f32_e32 v3, 0x3e3c28d5, v64
	v_fmac_f32_e32 v28, v58, v13
	v_fma_f32 v44, v61, v9, -v10
	v_fma_f32 v41, v63, v15, -v16
	v_add_f32_e32 v68, v36, v29
	v_sub_f32_e32 v59, v47, v43
	v_mul_f32_e32 v10, 0x3f3d2fb0, v69
	v_mov_b32_e32 v16, v11
	v_fmac_f32_e32 v18, 0xbeb8f4ab, v60
	v_add_f32_e32 v3, v3, v2
	v_mul_f32_e32 v14, v58, v14
	v_fmac_f32_e32 v26, v56, v7
	v_add_f32_e32 v66, v32, v28
	v_sub_f32_e32 v58, v46, v39
	v_mul_f32_e32 v9, 0xbf1a4643, v68
	v_mov_b32_e32 v15, v10
	v_fmac_f32_e32 v16, 0x3f06c442, v59
	v_add_f32_e32 v3, v18, v3
	v_fma_f32 v38, v57, v13, -v14
	v_add_f32_e32 v61, v27, v26
	v_sub_f32_e32 v57, v44, v41
	v_mul_f32_e32 v8, 0x3ee437d1, v66
	v_mov_b32_e32 v14, v9
	v_fmac_f32_e32 v15, 0xbf2c7751, v58
	v_add_f32_e32 v3, v16, v3
	v_sub_f32_e32 v56, v40, v38
	v_mul_f32_e32 v7, 0xbe8c1d8e, v61
	v_mov_b32_e32 v13, v8
	v_fmac_f32_e32 v14, 0x3f4c4adb, v57
	v_add_f32_e32 v3, v15, v3
	v_sub_f32_e32 v54, v35, v34
	v_mov_b32_e32 v12, v7
	v_fmac_f32_e32 v13, 0xbf65296c, v56
	v_add_f32_e32 v3, v14, v3
	v_fmac_f32_e32 v12, 0x3f763a35, v54
	v_add_f32_e32 v3, v13, v3
	v_sub_f32_e32 v79, v55, v52
	v_add_f32_e32 v3, v12, v3
	v_sub_f32_e32 v77, v51, v49
	v_mul_f32_e32 v12, 0xbe3c28d5, v79
	v_mul_f32_e32 v6, 0x3eb8f4ab, v77
	v_add_f32_e32 v67, v53, v48
	v_mov_b32_e32 v13, v12
	v_sub_f32_e32 v74, v45, v37
	v_add_f32_e32 v65, v50, v22
	v_mov_b32_e32 v4, v6
	v_fmac_f32_e32 v13, 0xbf7ba420, v67
	v_mul_f32_e32 v5, 0xbf06c442, v74
	v_fmac_f32_e32 v4, 0x3f6eb680, v65
	v_add_f32_e32 v13, v13, v1
	v_add_f32_e32 v63, v47, v43
	v_add_f32_e32 v4, v4, v13
	v_mov_b32_e32 v13, v5
	v_fmac_f32_e32 v13, 0xbf59a7d5, v63
	v_sub_f32_e32 v78, v42, v33
	v_add_f32_e32 v4, v13, v4
	v_mul_f32_e32 v13, 0x3f2c7751, v78
	v_add_f32_e32 v62, v46, v39
	v_mov_b32_e32 v14, v13
	v_fmac_f32_e32 v14, 0x3f3d2fb0, v62
	v_sub_f32_e32 v82, v36, v29
	v_add_f32_e32 v4, v14, v4
	v_mul_f32_e32 v14, 0xbf4c4adb, v82
	v_add_f32_e32 v71, v44, v41
	;; [unrolled: 6-line block ×4, first 2 shown]
	v_mov_b32_e32 v18, v16
	v_add_f32_e32 v85, v24, v25
	v_fmac_f32_e32 v18, 0xbe8c1d8e, v73
	v_mul_f32_e32 v20, 0x3dbcf732, v85
	v_add_f32_e32 v18, v18, v4
	v_sub_f32_e32 v80, v30, v31
	v_mov_b32_e32 v4, v20
	v_sub_f32_e32 v86, v24, v25
	v_fmac_f32_e32 v4, 0xbf7ee86f, v80
	v_mul_f32_e32 v87, 0x3f7ee86f, v86
	v_add_f32_e32 v4, v4, v3
	v_add_f32_e32 v75, v30, v31
	v_mov_b32_e32 v3, v87
	v_fmac_f32_e32 v3, 0x3dbcf732, v75
	v_fmac_f32_e32 v19, 0xbe3c28d5, v64
	v_add_f32_e32 v3, v3, v18
	v_fmac_f32_e32 v17, 0x3eb8f4ab, v60
	v_add_f32_e32 v18, v19, v2
	v_add_f32_e32 v17, v17, v18
	v_fmac_f32_e32 v11, 0xbf06c442, v59
	v_add_f32_e32 v11, v11, v17
	v_fmac_f32_e32 v10, 0x3f2c7751, v58
	;; [unrolled: 2-line block ×5, first 2 shown]
	v_add_f32_e32 v7, v7, v8
	v_fma_f32 v8, v67, s24, -v12
	v_fma_f32 v6, v65, s3, -v6
	v_add_f32_e32 v8, v8, v1
	v_add_f32_e32 v6, v6, v8
	v_fma_f32 v5, v63, s23, -v5
	v_add_f32_e32 v5, v5, v6
	v_fma_f32 v6, v62, s9, -v13
	;; [unrolled: 2-line block ×5, first 2 shown]
	v_fmac_f32_e32 v20, 0x3f7ee86f, v80
	v_mul_f32_e32 v10, 0xbf59a7d5, v81
	v_add_f32_e32 v5, v6, v5
	v_add_f32_e32 v6, v20, v7
	v_fma_f32 v7, v75, s20, -v87
	v_mul_f32_e32 v9, 0x3ee437d1, v76
	v_mov_b32_e32 v8, v10
	v_add_f32_e32 v5, v7, v5
	v_mov_b32_e32 v7, v9
	v_fmac_f32_e32 v8, 0x3f06c442, v64
	v_fmac_f32_e32 v7, 0xbf65296c, v60
	v_add_f32_e32 v8, v8, v2
	v_mul_f32_e32 v11, 0x3dbcf732, v70
	v_add_f32_e32 v7, v7, v8
	v_mov_b32_e32 v8, v11
	v_fmac_f32_e32 v8, 0x3f7ee86f, v59
	v_mul_f32_e32 v12, 0xbf1a4643, v69
	v_add_f32_e32 v7, v8, v7
	v_mov_b32_e32 v8, v12
	v_fmac_f32_e32 v8, 0xbf4c4adb, v58
	v_mul_f32_e32 v13, 0x3f6eb680, v68
	v_add_f32_e32 v7, v8, v7
	v_mov_b32_e32 v8, v13
	v_fmac_f32_e32 v8, 0x3eb8f4ab, v57
	v_mul_f32_e32 v14, 0xbf7ba420, v66
	v_add_f32_e32 v7, v8, v7
	v_mov_b32_e32 v8, v14
	v_fmac_f32_e32 v8, 0x3e3c28d5, v56
	v_mul_f32_e32 v15, 0x3f3d2fb0, v61
	v_add_f32_e32 v7, v8, v7
	v_mov_b32_e32 v8, v15
	v_mul_f32_e32 v17, 0xbf06c442, v79
	v_fmac_f32_e32 v8, 0xbf2c7751, v54
	v_mul_f32_e32 v16, 0x3f65296c, v77
	v_mov_b32_e32 v18, v17
	v_add_f32_e32 v7, v8, v7
	v_mov_b32_e32 v8, v16
	v_fmac_f32_e32 v18, 0xbf59a7d5, v67
	v_fmac_f32_e32 v8, 0x3ee437d1, v65
	v_add_f32_e32 v18, v18, v1
	v_add_f32_e32 v8, v8, v18
	v_mul_f32_e32 v18, 0xbf7ee86f, v74
	v_mov_b32_e32 v19, v18
	v_fmac_f32_e32 v19, 0x3dbcf732, v63
	v_add_f32_e32 v8, v19, v8
	v_mul_f32_e32 v19, 0x3f4c4adb, v78
	v_mov_b32_e32 v20, v19
	v_fmac_f32_e32 v20, 0xbf1a4643, v62
	v_add_f32_e32 v8, v20, v8
	v_mul_f32_e32 v20, 0xbeb8f4ab, v82
	v_fmac_f32_e32 v10, 0xbf06c442, v64
	v_mov_b32_e32 v87, v20
	v_fmac_f32_e32 v9, 0x3f65296c, v60
	v_add_f32_e32 v10, v10, v2
	v_fmac_f32_e32 v87, 0x3f6eb680, v71
	v_add_f32_e32 v9, v9, v10
	;; [unrolled: 2-line block ×3, first 2 shown]
	v_mul_f32_e32 v87, 0xbe3c28d5, v83
	v_add_f32_e32 v9, v11, v9
	v_fma_f32 v11, v67, s23, -v17
	v_mov_b32_e32 v88, v87
	v_fma_f32 v10, v65, s18, -v16
	v_add_f32_e32 v11, v11, v1
	v_fmac_f32_e32 v88, 0xbf7ba420, v72
	v_fmac_f32_e32 v12, 0x3f4c4adb, v58
	v_add_f32_e32 v10, v10, v11
	v_fma_f32 v11, v63, s20, -v18
	v_add_f32_e32 v8, v88, v8
	v_mul_f32_e32 v88, 0x3f2c7751, v84
	v_add_f32_e32 v9, v12, v9
	v_fmac_f32_e32 v13, 0xbeb8f4ab, v57
	v_add_f32_e32 v10, v11, v10
	v_fma_f32 v11, v62, s22, -v19
	v_mov_b32_e32 v89, v88
	v_add_f32_e32 v9, v13, v9
	v_fmac_f32_e32 v14, 0xbe3c28d5, v56
	v_add_f32_e32 v10, v11, v10
	v_fma_f32 v11, v71, s3, -v20
	v_fmac_f32_e32 v89, 0x3f3d2fb0, v73
	v_mul_f32_e32 v90, 0xbe8c1d8e, v85
	v_add_f32_e32 v9, v14, v9
	v_fmac_f32_e32 v15, 0x3f2c7751, v54
	v_add_f32_e32 v10, v11, v10
	v_fma_f32 v11, v72, s24, -v87
	v_add_f32_e32 v89, v89, v8
	v_mov_b32_e32 v8, v90
	v_mul_f32_e32 v91, 0xbf763a35, v86
	v_add_f32_e32 v9, v15, v9
	v_add_f32_e32 v10, v11, v10
	v_fma_f32 v11, v73, s9, -v88
	v_fmac_f32_e32 v90, 0xbf763a35, v80
	v_mul_f32_e32 v14, 0xbf1a4643, v81
	v_add_f32_e32 v11, v11, v10
	v_add_f32_e32 v10, v90, v9
	v_fma_f32 v9, v75, s21, -v91
	v_mul_f32_e32 v13, 0xbe8c1d8e, v76
	v_mov_b32_e32 v12, v14
	v_add_f32_e32 v9, v9, v11
	v_mov_b32_e32 v11, v13
	v_fmac_f32_e32 v12, 0x3f4c4adb, v64
	v_fmac_f32_e32 v11, 0xbf763a35, v60
	v_add_f32_e32 v12, v12, v2
	v_mul_f32_e32 v15, 0x3f6eb680, v70
	v_add_f32_e32 v11, v11, v12
	v_mov_b32_e32 v12, v15
	v_fmac_f32_e32 v12, 0x3eb8f4ab, v59
	v_mul_f32_e32 v16, 0xbf59a7d5, v69
	v_add_f32_e32 v11, v12, v11
	v_mov_b32_e32 v12, v16
	v_fmac_f32_e32 v12, 0x3f06c442, v58
	;; [unrolled: 4-line block ×4, first 2 shown]
	v_mul_f32_e32 v19, 0xbf7ba420, v61
	v_add_f32_e32 v11, v12, v11
	v_mov_b32_e32 v12, v19
	v_mul_f32_e32 v87, 0xbf4c4adb, v79
	v_fmac_f32_e32 v12, 0x3e3c28d5, v54
	v_mul_f32_e32 v20, 0x3f763a35, v77
	v_mov_b32_e32 v88, v87
	v_fmac_f32_e32 v8, 0x3f763a35, v80
	v_add_f32_e32 v11, v12, v11
	v_mov_b32_e32 v12, v20
	v_fmac_f32_e32 v88, 0xbf1a4643, v67
	v_add_f32_e32 v8, v8, v7
	;; [unrolled: 3-line block ×3, first 2 shown]
	v_fmac_f32_e32 v7, 0xbe8c1d8e, v75
	v_add_f32_e32 v12, v12, v88
	v_mul_f32_e32 v88, 0xbeb8f4ab, v74
	v_add_f32_e32 v7, v7, v89
	v_mov_b32_e32 v89, v88
	v_fmac_f32_e32 v89, 0x3f6eb680, v63
	v_add_f32_e32 v12, v89, v12
	v_mul_f32_e32 v89, 0xbf06c442, v78
	v_mov_b32_e32 v90, v89
	v_fmac_f32_e32 v90, 0xbf59a7d5, v62
	v_add_f32_e32 v12, v90, v12
	v_mul_f32_e32 v90, 0x3f7ee86f, v82
	v_fmac_f32_e32 v14, 0xbf4c4adb, v64
	v_mov_b32_e32 v91, v90
	v_fmac_f32_e32 v13, 0x3f763a35, v60
	v_add_f32_e32 v14, v14, v2
	v_fmac_f32_e32 v91, 0x3dbcf732, v71
	v_add_f32_e32 v13, v13, v14
	v_fmac_f32_e32 v15, 0xbeb8f4ab, v59
	v_add_f32_e32 v12, v91, v12
	v_mul_f32_e32 v91, 0xbf2c7751, v83
	v_add_f32_e32 v13, v15, v13
	v_fma_f32 v15, v67, s22, -v87
	v_mov_b32_e32 v92, v91
	v_fma_f32 v14, v65, s21, -v20
	v_add_f32_e32 v15, v15, v1
	v_fmac_f32_e32 v92, 0x3f3d2fb0, v72
	v_fmac_f32_e32 v16, 0xbf06c442, v58
	v_add_f32_e32 v14, v14, v15
	v_fma_f32 v15, v63, s3, -v88
	v_add_f32_e32 v12, v92, v12
	v_mul_f32_e32 v92, 0xbe3c28d5, v84
	v_add_f32_e32 v13, v16, v13
	v_fmac_f32_e32 v17, 0x3f7ee86f, v57
	v_add_f32_e32 v14, v15, v14
	v_fma_f32 v15, v62, s23, -v89
	v_mov_b32_e32 v93, v92
	v_add_f32_e32 v13, v17, v13
	v_fmac_f32_e32 v18, 0xbf2c7751, v56
	v_add_f32_e32 v14, v15, v14
	v_fma_f32 v15, v71, s20, -v90
	v_fmac_f32_e32 v93, 0xbf7ba420, v73
	v_mul_f32_e32 v94, 0x3ee437d1, v85
	v_add_f32_e32 v13, v18, v13
	v_fmac_f32_e32 v19, 0xbe3c28d5, v54
	v_add_f32_e32 v14, v15, v14
	v_fma_f32 v15, v72, s9, -v91
	v_add_f32_e32 v93, v93, v12
	v_mov_b32_e32 v12, v94
	v_mul_f32_e32 v95, 0x3f65296c, v86
	v_add_f32_e32 v13, v19, v13
	v_add_f32_e32 v14, v15, v14
	v_fma_f32 v15, v73, s24, -v92
	v_fmac_f32_e32 v94, 0x3f65296c, v80
	v_add_f32_e32 v14, v15, v14
	v_add_f32_e32 v16, v94, v13
	v_fma_f32 v13, v75, s18, -v95
	v_mul_f32_e32 v18, 0xbe8c1d8e, v81
	v_add_f32_e32 v15, v13, v14
	v_mul_f32_e32 v17, 0xbf59a7d5, v76
	v_mov_b32_e32 v14, v18
	v_mov_b32_e32 v13, v17
	v_fmac_f32_e32 v14, 0x3f763a35, v64
	v_fmac_f32_e32 v13, 0xbf06c442, v60
	v_add_f32_e32 v14, v14, v2
	v_mul_f32_e32 v19, 0x3f3d2fb0, v70
	v_add_f32_e32 v13, v13, v14
	v_mov_b32_e32 v14, v19
	v_fmac_f32_e32 v14, 0xbf2c7751, v59
	v_mul_f32_e32 v20, 0x3ee437d1, v69
	v_add_f32_e32 v13, v14, v13
	v_mov_b32_e32 v14, v20
	v_fmac_f32_e32 v14, 0x3f65296c, v58
	;; [unrolled: 4-line block ×4, first 2 shown]
	v_mul_f32_e32 v89, 0x3f6eb680, v61
	v_add_f32_e32 v13, v14, v13
	v_mov_b32_e32 v14, v89
	v_mul_f32_e32 v91, 0xbf763a35, v79
	v_fmac_f32_e32 v14, 0x3eb8f4ab, v54
	v_mul_f32_e32 v90, 0x3f06c442, v77
	v_mov_b32_e32 v92, v91
	v_fmac_f32_e32 v12, 0xbf65296c, v80
	v_add_f32_e32 v13, v14, v13
	v_mov_b32_e32 v14, v90
	v_fmac_f32_e32 v92, 0xbe8c1d8e, v67
	v_add_f32_e32 v12, v12, v11
	v_mov_b32_e32 v11, v95
	v_fmac_f32_e32 v14, 0xbf59a7d5, v65
	v_add_f32_e32 v92, v92, v1
	v_fmac_f32_e32 v11, 0x3ee437d1, v75
	v_add_f32_e32 v14, v14, v92
	v_mul_f32_e32 v92, 0x3f2c7751, v74
	v_add_f32_e32 v11, v11, v93
	v_mov_b32_e32 v93, v92
	v_fmac_f32_e32 v93, 0x3f3d2fb0, v63
	v_add_f32_e32 v14, v93, v14
	v_mul_f32_e32 v93, 0xbf65296c, v78
	v_mov_b32_e32 v94, v93
	v_fmac_f32_e32 v94, 0x3ee437d1, v62
	v_add_f32_e32 v14, v94, v14
	v_mul_f32_e32 v94, 0xbe3c28d5, v82
	v_fmac_f32_e32 v18, 0xbf763a35, v64
	v_mov_b32_e32 v95, v94
	v_fmac_f32_e32 v17, 0x3f06c442, v60
	v_add_f32_e32 v18, v18, v2
	v_fmac_f32_e32 v95, 0xbf7ba420, v71
	v_add_f32_e32 v17, v17, v18
	;; [unrolled: 2-line block ×3, first 2 shown]
	v_mul_f32_e32 v95, 0x3f7ee86f, v83
	v_add_f32_e32 v17, v19, v17
	v_fma_f32 v19, v67, s21, -v91
	v_mov_b32_e32 v96, v95
	v_fma_f32 v18, v65, s23, -v90
	v_add_f32_e32 v19, v19, v1
	v_fmac_f32_e32 v96, 0x3dbcf732, v72
	v_fmac_f32_e32 v20, 0xbf65296c, v58
	v_add_f32_e32 v18, v18, v19
	v_fma_f32 v19, v63, s9, -v92
	v_add_f32_e32 v14, v96, v14
	v_mul_f32_e32 v96, 0xbeb8f4ab, v84
	v_add_f32_e32 v17, v20, v17
	v_fmac_f32_e32 v87, 0xbe3c28d5, v57
	v_add_f32_e32 v18, v19, v18
	v_fma_f32 v19, v62, s18, -v93
	v_mov_b32_e32 v97, v96
	v_add_f32_e32 v17, v87, v17
	v_fmac_f32_e32 v88, 0x3f7ee86f, v56
	v_add_f32_e32 v18, v19, v18
	v_fma_f32 v19, v71, s24, -v94
	v_fmac_f32_e32 v97, 0x3f6eb680, v73
	v_mul_f32_e32 v98, 0xbf1a4643, v85
	v_add_f32_e32 v17, v88, v17
	v_fmac_f32_e32 v89, 0xbeb8f4ab, v54
	v_add_f32_e32 v18, v19, v18
	v_fma_f32 v19, v72, s20, -v95
	v_add_f32_e32 v97, v97, v14
	v_mov_b32_e32 v14, v98
	v_mul_f32_e32 v99, 0xbf4c4adb, v86
	v_add_f32_e32 v17, v89, v17
	v_add_f32_e32 v18, v19, v18
	v_fma_f32 v19, v73, s3, -v96
	v_fmac_f32_e32 v98, 0xbf4c4adb, v80
	v_add_f32_e32 v18, v19, v18
	v_add_f32_e32 v20, v98, v17
	v_fma_f32 v17, v75, s22, -v99
	v_mul_f32_e32 v88, 0x3dbcf732, v81
	v_add_f32_e32 v19, v17, v18
	v_mul_f32_e32 v87, 0xbf7ba420, v76
	v_mov_b32_e32 v18, v88
	v_mov_b32_e32 v17, v87
	v_fmac_f32_e32 v18, 0x3f7ee86f, v64
	v_fmac_f32_e32 v17, 0x3e3c28d5, v60
	v_add_f32_e32 v18, v18, v2
	v_mul_f32_e32 v89, 0xbe8c1d8e, v70
	v_add_f32_e32 v17, v17, v18
	v_mov_b32_e32 v18, v89
	v_fmac_f32_e32 v18, 0xbf763a35, v59
	v_mul_f32_e32 v90, 0x3f6eb680, v69
	v_add_f32_e32 v17, v18, v17
	v_mov_b32_e32 v18, v90
	v_fmac_f32_e32 v18, 0xbeb8f4ab, v58
	;; [unrolled: 4-line block ×4, first 2 shown]
	v_mul_f32_e32 v93, 0xbf1a4643, v61
	v_add_f32_e32 v17, v18, v17
	v_mov_b32_e32 v18, v93
	v_mul_f32_e32 v95, 0xbf7ee86f, v79
	v_fmac_f32_e32 v18, 0xbf4c4adb, v54
	v_mul_f32_e32 v94, 0xbe3c28d5, v77
	v_mov_b32_e32 v96, v95
	v_fmac_f32_e32 v14, 0x3f4c4adb, v80
	v_add_f32_e32 v17, v18, v17
	v_mov_b32_e32 v18, v94
	v_fmac_f32_e32 v96, 0x3dbcf732, v67
	v_add_f32_e32 v14, v14, v13
	;; [unrolled: 3-line block ×3, first 2 shown]
	v_fmac_f32_e32 v13, 0xbf1a4643, v75
	v_add_f32_e32 v18, v18, v96
	v_mul_f32_e32 v96, 0x3f763a35, v74
	v_add_f32_e32 v13, v13, v97
	v_mov_b32_e32 v97, v96
	v_fmac_f32_e32 v97, 0xbe8c1d8e, v63
	v_add_f32_e32 v18, v97, v18
	v_mul_f32_e32 v97, 0x3eb8f4ab, v78
	v_mov_b32_e32 v98, v97
	v_fmac_f32_e32 v98, 0x3f6eb680, v62
	v_add_f32_e32 v18, v98, v18
	v_mul_f32_e32 v98, 0xbf65296c, v82
	v_fmac_f32_e32 v88, 0xbf7ee86f, v64
	v_mov_b32_e32 v99, v98
	v_fmac_f32_e32 v87, 0xbe3c28d5, v60
	v_add_f32_e32 v88, v88, v2
	v_fmac_f32_e32 v99, 0x3ee437d1, v71
	v_add_f32_e32 v87, v87, v88
	;; [unrolled: 2-line block ×3, first 2 shown]
	v_mul_f32_e32 v99, 0xbf06c442, v83
	v_add_f32_e32 v87, v89, v87
	v_fma_f32 v89, v67, s20, -v95
	v_mov_b32_e32 v100, v99
	v_fma_f32 v88, v65, s24, -v94
	v_add_f32_e32 v89, v89, v1
	v_fmac_f32_e32 v100, 0xbf59a7d5, v72
	v_fmac_f32_e32 v90, 0x3eb8f4ab, v58
	v_add_f32_e32 v88, v88, v89
	v_fma_f32 v89, v63, s21, -v96
	v_add_f32_e32 v18, v100, v18
	v_mul_f32_e32 v100, 0x3f4c4adb, v84
	v_add_f32_e32 v87, v90, v87
	v_fmac_f32_e32 v91, 0xbf65296c, v57
	v_add_f32_e32 v88, v89, v88
	v_fma_f32 v89, v62, s3, -v97
	v_mov_b32_e32 v101, v100
	v_add_f32_e32 v87, v91, v87
	v_fmac_f32_e32 v92, 0xbf06c442, v56
	v_add_f32_e32 v88, v89, v88
	v_fma_f32 v89, v71, s18, -v98
	v_fmac_f32_e32 v101, 0xbf1a4643, v73
	v_mul_f32_e32 v102, 0x3f3d2fb0, v85
	v_add_f32_e32 v87, v92, v87
	v_fmac_f32_e32 v93, 0x3f4c4adb, v54
	v_add_f32_e32 v88, v89, v88
	v_fma_f32 v89, v72, s23, -v99
	v_add_f32_e32 v101, v101, v18
	v_mov_b32_e32 v18, v102
	v_mul_f32_e32 v103, 0x3f2c7751, v86
	v_add_f32_e32 v87, v93, v87
	v_add_f32_e32 v88, v89, v88
	v_fma_f32 v89, v73, s22, -v100
	v_fmac_f32_e32 v102, 0x3f2c7751, v80
	v_mul_f32_e32 v92, 0x3ee437d1, v81
	v_add_f32_e32 v89, v89, v88
	v_add_f32_e32 v88, v102, v87
	v_fma_f32 v87, v75, s9, -v103
	v_mul_f32_e32 v91, 0xbf1a4643, v76
	v_mov_b32_e32 v90, v92
	v_add_f32_e32 v87, v87, v89
	v_mov_b32_e32 v89, v91
	v_fmac_f32_e32 v90, 0x3f65296c, v64
	v_fmac_f32_e32 v89, 0x3f4c4adb, v60
	v_add_f32_e32 v90, v90, v2
	v_mul_f32_e32 v93, 0xbf7ba420, v70
	v_add_f32_e32 v89, v89, v90
	v_mov_b32_e32 v90, v93
	v_fmac_f32_e32 v90, 0xbe3c28d5, v59
	v_mul_f32_e32 v94, 0xbe8c1d8e, v69
	v_add_f32_e32 v89, v90, v89
	v_mov_b32_e32 v90, v94
	v_fmac_f32_e32 v90, 0xbf763a35, v58
	;; [unrolled: 4-line block ×4, first 2 shown]
	v_mul_f32_e32 v97, 0x3dbcf732, v61
	v_add_f32_e32 v89, v90, v89
	v_mov_b32_e32 v90, v97
	v_mul_f32_e32 v99, 0xbf65296c, v79
	v_fmac_f32_e32 v90, 0x3f7ee86f, v54
	v_mul_f32_e32 v98, 0xbf4c4adb, v77
	v_mov_b32_e32 v100, v99
	v_fmac_f32_e32 v18, 0xbf2c7751, v80
	v_add_f32_e32 v89, v90, v89
	v_mov_b32_e32 v90, v98
	v_fmac_f32_e32 v100, 0x3ee437d1, v67
	v_add_f32_e32 v18, v18, v17
	;; [unrolled: 3-line block ×3, first 2 shown]
	v_fmac_f32_e32 v17, 0x3f3d2fb0, v75
	v_add_f32_e32 v90, v90, v100
	v_mul_f32_e32 v100, 0x3e3c28d5, v74
	v_add_f32_e32 v17, v17, v101
	v_mov_b32_e32 v101, v100
	v_fmac_f32_e32 v101, 0xbf7ba420, v63
	v_add_f32_e32 v90, v101, v90
	v_mul_f32_e32 v101, 0x3f763a35, v78
	v_mov_b32_e32 v102, v101
	v_fmac_f32_e32 v102, 0xbe8c1d8e, v62
	v_add_f32_e32 v90, v102, v90
	v_mul_f32_e32 v102, 0x3f2c7751, v82
	v_fmac_f32_e32 v92, 0xbf65296c, v64
	v_mov_b32_e32 v103, v102
	v_fmac_f32_e32 v91, 0xbf4c4adb, v60
	v_add_f32_e32 v92, v92, v2
	v_fmac_f32_e32 v103, 0x3f3d2fb0, v71
	v_add_f32_e32 v91, v91, v92
	;; [unrolled: 2-line block ×3, first 2 shown]
	v_mul_f32_e32 v103, 0xbeb8f4ab, v83
	v_add_f32_e32 v91, v93, v91
	v_fma_f32 v93, v67, s18, -v99
	v_mov_b32_e32 v104, v103
	v_fma_f32 v92, v65, s22, -v98
	v_add_f32_e32 v93, v93, v1
	v_fmac_f32_e32 v104, 0x3f6eb680, v72
	v_fmac_f32_e32 v94, 0x3f763a35, v58
	v_add_f32_e32 v92, v92, v93
	v_fma_f32 v93, v63, s24, -v100
	v_add_f32_e32 v90, v104, v90
	v_mul_f32_e32 v104, 0xbf7ee86f, v84
	v_add_f32_e32 v91, v94, v91
	v_fmac_f32_e32 v95, 0x3f2c7751, v57
	v_add_f32_e32 v92, v93, v92
	v_fma_f32 v93, v62, s21, -v101
	v_mov_b32_e32 v105, v104
	v_add_f32_e32 v91, v95, v91
	v_fmac_f32_e32 v96, 0xbeb8f4ab, v56
	v_add_f32_e32 v92, v93, v92
	v_fma_f32 v93, v71, s9, -v102
	v_fmac_f32_e32 v105, 0x3dbcf732, v73
	v_mul_f32_e32 v106, 0xbf59a7d5, v85
	v_add_f32_e32 v91, v96, v91
	v_fmac_f32_e32 v97, 0xbf7ee86f, v54
	v_add_f32_e32 v92, v93, v92
	v_fma_f32 v93, v72, s3, -v103
	v_add_f32_e32 v105, v105, v90
	v_mov_b32_e32 v90, v106
	v_mul_f32_e32 v107, 0xbf06c442, v86
	v_add_f32_e32 v91, v97, v91
	v_add_f32_e32 v92, v93, v92
	v_fma_f32 v93, v73, s20, -v104
	v_fmac_f32_e32 v106, 0xbf06c442, v80
	v_mul_f32_e32 v96, 0x3f3d2fb0, v81
	v_add_f32_e32 v93, v93, v92
	v_add_f32_e32 v92, v106, v91
	v_fma_f32 v91, v75, s23, -v107
	v_mul_f32_e32 v95, 0x3dbcf732, v76
	v_mov_b32_e32 v94, v96
	v_add_f32_e32 v91, v91, v93
	v_mov_b32_e32 v93, v95
	v_fmac_f32_e32 v94, 0x3f2c7751, v64
	v_fmac_f32_e32 v93, 0x3f7ee86f, v60
	v_add_f32_e32 v94, v94, v2
	v_mul_f32_e32 v97, 0xbf1a4643, v70
	v_add_f32_e32 v93, v93, v94
	v_mov_b32_e32 v94, v97
	v_fmac_f32_e32 v94, 0x3f4c4adb, v59
	v_mul_f32_e32 v98, 0xbf7ba420, v69
	v_add_f32_e32 v93, v94, v93
	v_mov_b32_e32 v94, v98
	v_fmac_f32_e32 v94, 0x3e3c28d5, v58
	;; [unrolled: 4-line block ×4, first 2 shown]
	v_mul_f32_e32 v101, 0x3ee437d1, v61
	v_add_f32_e32 v93, v94, v93
	v_mov_b32_e32 v94, v101
	v_mul_f32_e32 v103, 0xbf2c7751, v79
	v_fmac_f32_e32 v94, 0xbf65296c, v54
	v_mul_f32_e32 v102, 0xbf7ee86f, v77
	v_mov_b32_e32 v104, v103
	v_fmac_f32_e32 v90, 0x3f06c442, v80
	v_add_f32_e32 v93, v94, v93
	v_mov_b32_e32 v94, v102
	v_fmac_f32_e32 v104, 0x3f3d2fb0, v67
	v_add_f32_e32 v90, v90, v89
	;; [unrolled: 3-line block ×3, first 2 shown]
	v_fmac_f32_e32 v89, 0xbf59a7d5, v75
	v_add_f32_e32 v94, v94, v104
	v_mul_f32_e32 v104, 0xbf4c4adb, v74
	v_add_f32_e32 v89, v89, v105
	v_mov_b32_e32 v105, v104
	v_fmac_f32_e32 v105, 0xbf1a4643, v63
	v_add_f32_e32 v94, v105, v94
	v_mul_f32_e32 v105, 0xbe3c28d5, v78
	v_mov_b32_e32 v106, v105
	v_fmac_f32_e32 v106, 0xbf7ba420, v62
	v_add_f32_e32 v94, v106, v94
	v_mul_f32_e32 v106, 0x3f06c442, v82
	v_fmac_f32_e32 v96, 0xbf2c7751, v64
	v_mov_b32_e32 v107, v106
	v_fmac_f32_e32 v95, 0xbf7ee86f, v60
	v_add_f32_e32 v96, v96, v2
	v_fmac_f32_e32 v107, 0xbf59a7d5, v71
	v_add_f32_e32 v95, v95, v96
	;; [unrolled: 2-line block ×3, first 2 shown]
	v_mul_f32_e32 v107, 0x3f763a35, v83
	v_add_f32_e32 v95, v97, v95
	v_fma_f32 v97, v67, s9, -v103
	v_mov_b32_e32 v108, v107
	v_fma_f32 v96, v65, s20, -v102
	v_add_f32_e32 v97, v97, v1
	v_fmac_f32_e32 v108, 0xbe8c1d8e, v72
	v_fmac_f32_e32 v98, 0xbe3c28d5, v58
	v_add_f32_e32 v96, v96, v97
	v_fma_f32 v97, v63, s22, -v104
	v_add_f32_e32 v94, v108, v94
	v_mul_f32_e32 v108, 0x3f65296c, v84
	v_add_f32_e32 v95, v98, v95
	v_fmac_f32_e32 v99, 0x3f06c442, v57
	v_add_f32_e32 v96, v97, v96
	v_fma_f32 v97, v62, s24, -v105
	v_mov_b32_e32 v109, v108
	v_add_f32_e32 v95, v99, v95
	v_fmac_f32_e32 v100, 0x3f763a35, v56
	v_add_f32_e32 v96, v97, v96
	v_fma_f32 v97, v71, s23, -v106
	v_fmac_f32_e32 v109, 0x3ee437d1, v73
	v_mul_f32_e32 v110, 0x3f6eb680, v85
	v_add_f32_e32 v95, v100, v95
	v_fmac_f32_e32 v101, 0x3f65296c, v54
	v_add_f32_e32 v96, v97, v96
	v_fma_f32 v97, v72, s21, -v107
	v_add_f32_e32 v109, v109, v94
	v_mov_b32_e32 v94, v110
	v_mul_f32_e32 v111, 0x3eb8f4ab, v86
	v_add_f32_e32 v95, v101, v95
	v_add_f32_e32 v96, v97, v96
	v_fma_f32 v97, v73, s18, -v108
	v_fmac_f32_e32 v110, 0x3eb8f4ab, v80
	v_mul_f32_e32 v81, 0x3f6eb680, v81
	v_add_f32_e32 v97, v97, v96
	v_add_f32_e32 v96, v110, v95
	v_fma_f32 v95, v75, s3, -v111
	v_mul_f32_e32 v76, 0x3f3d2fb0, v76
	v_mov_b32_e32 v98, v81
	v_add_f32_e32 v95, v95, v97
	v_mov_b32_e32 v97, v76
	v_fmac_f32_e32 v98, 0x3eb8f4ab, v64
	v_fmac_f32_e32 v97, 0x3f2c7751, v60
	v_add_f32_e32 v98, v98, v2
	v_mul_f32_e32 v70, 0x3ee437d1, v70
	v_add_f32_e32 v97, v97, v98
	v_mov_b32_e32 v98, v70
	v_fmac_f32_e32 v98, 0x3f65296c, v59
	v_add_f32_e32 v97, v98, v97
	v_mul_f32_e32 v98, 0x3dbcf732, v69
	v_mov_b32_e32 v69, v98
	v_fmac_f32_e32 v69, 0x3f7ee86f, v58
	v_add_f32_e32 v69, v69, v97
	v_mul_f32_e32 v97, 0xbe8c1d8e, v68
	v_mov_b32_e32 v68, v97
	v_fmac_f32_e32 v68, 0x3f763a35, v57
	v_mul_f32_e32 v66, 0xbf1a4643, v66
	v_add_f32_e32 v68, v68, v69
	v_mov_b32_e32 v69, v66
	v_fmac_f32_e32 v69, 0x3f4c4adb, v56
	v_mul_f32_e32 v61, 0xbf59a7d5, v61
	v_add_f32_e32 v68, v69, v68
	v_mov_b32_e32 v69, v61
	v_fmac_f32_e32 v81, 0xbeb8f4ab, v64
	v_fmac_f32_e32 v69, 0x3f06c442, v54
	;; [unrolled: 1-line block ×4, first 2 shown]
	v_add_f32_e32 v54, v81, v2
	v_mul_f32_e32 v79, 0xbeb8f4ab, v79
	v_fmac_f32_e32 v70, 0xbf65296c, v59
	v_add_f32_e32 v54, v76, v54
	v_mul_f32_e32 v77, 0xbf2c7751, v77
	v_mov_b32_e32 v99, v79
	v_fmac_f32_e32 v98, 0xbf7ee86f, v58
	v_add_f32_e32 v54, v70, v54
	v_add_f32_e32 v68, v69, v68
	v_mov_b32_e32 v69, v77
	v_fmac_f32_e32 v99, 0x3f6eb680, v67
	v_fmac_f32_e32 v97, 0xbf763a35, v57
	v_add_f32_e32 v54, v98, v54
	v_fmac_f32_e32 v69, 0x3f3d2fb0, v65
	v_add_f32_e32 v99, v99, v1
	v_mul_f32_e32 v74, 0xbf65296c, v74
	v_fmac_f32_e32 v66, 0xbf4c4adb, v56
	v_add_f32_e32 v54, v97, v54
	v_add_f32_e32 v69, v69, v99
	v_mov_b32_e32 v99, v74
	v_add_f32_e32 v54, v66, v54
	v_fmac_f32_e32 v99, 0x3ee437d1, v63
	v_add_f32_e32 v54, v61, v54
	v_fma_f32 v61, v63, s18, -v74
	v_fma_f32 v63, v67, s3, -v79
	v_add_f32_e32 v2, v55, v2
	v_add_f32_e32 v63, v63, v1
	;; [unrolled: 1-line block ×24, first 2 shown]
	v_mad_u64_u32 v[24:25], s[10:11], s0, v21, 0
	v_add_f32_e32 v2, v2, v33
	v_add_f32_e32 v1, v1, v41
	;; [unrolled: 1-line block ×6, first 2 shown]
	s_mul_i32 s3, s1, s26
	v_add_f32_e32 v2, v2, v52
	v_add_f32_e32 v26, v1, v22
	v_mov_b32_e32 v1, v25
	s_add_i32 s5, s4, s3
	s_mul_i32 s4, s0, s26
	v_mad_u64_u32 v[21:22], s[0:1], s1, v21, v[1:2]
	s_mov_b32 s0, 0x226b903
	v_mul_hi_u32 v0, v0, s0
	v_mul_f32_e32 v78, 0xbf7ee86f, v78
	v_add_f32_e32 v69, v99, v69
	v_mov_b32_e32 v99, v78
	s_mul_i32 s3, s15, s19
	s_movk_i32 s0, 0x121
	v_fmac_f32_e32 v99, 0x3dbcf732, v62
	v_fma_f32 v60, v62, s20, -v78
	v_fma_f32 v62, v65, s9, -v77
	s_add_i32 s9, s8, s3
	v_mad_u32_u24 v0, v0, s0, v23
	s_lshl_b64 s[0:1], s[4:5], 3
	s_add_u32 s3, s12, s0
	s_addc_u32 s4, s13, s1
	s_lshl_b64 s[0:1], s[6:7], 3
	s_mul_i32 s8, s14, s19
	s_add_u32 s3, s3, s0
	v_mov_b32_e32 v25, v21
	v_mul_lo_u32 v21, v0, s2
	s_addc_u32 s4, s4, s1
	s_lshl_b64 s[0:1], s[8:9], 3
	s_add_u32 s0, s3, s0
	v_lshlrev_b64 v[23:24], 3, v[24:25]
	s_addc_u32 s1, s4, s1
	v_mul_f32_e32 v82, 0xbf763a35, v82
	v_mov_b32_e32 v22, 0
	v_mov_b32_e32 v0, s1
	v_add_co_u32_e32 v25, vcc, s0, v23
	v_add_f32_e32 v69, v99, v69
	v_mov_b32_e32 v99, v82
	v_add_f32_e32 v1, v26, v48
	v_addc_co_u32_e32 v26, vcc, v0, v24, vcc
	v_lshlrev_b64 v[23:24], 3, v[21:22]
	v_fmac_f32_e32 v99, 0xbe8c1d8e, v71
	v_mul_f32_e32 v83, 0xbf4c4adb, v83
	v_add_f32_e32 v62, v62, v63
	v_add_f32_e32 v69, v99, v69
	v_mov_b32_e32 v99, v83
	v_add_f32_e32 v61, v61, v62
	v_add_co_u32_e32 v23, vcc, v25, v23
	s_mul_i32 s0, s2, 17
	v_fmac_f32_e32 v99, 0xbf1a4643, v72
	v_mul_f32_e32 v84, 0xbf06c442, v84
	v_fma_f32 v59, v71, s21, -v82
	v_add_f32_e32 v60, v60, v61
	v_addc_co_u32_e32 v24, vcc, v26, v24, vcc
	v_add_u32_e32 v21, s0, v21
	v_add_f32_e32 v69, v99, v69
	v_mov_b32_e32 v99, v84
	v_fma_f32 v58, v72, s22, -v83
	v_add_f32_e32 v59, v59, v60
	global_store_dwordx2 v[23:24], v[1:2], off
	v_lshlrev_b64 v[0:1], 3, v[21:22]
	v_fmac_f32_e32 v99, 0xbf59a7d5, v73
	v_mul_f32_e32 v85, 0xbf7ba420, v85
	v_mul_f32_e32 v86, 0xbe3c28d5, v86
	v_fma_f32 v57, v73, s23, -v84
	v_add_f32_e32 v58, v58, v59
	v_add_f32_e32 v99, v99, v69
	v_mov_b32_e32 v69, v85
	v_fmac_f32_e32 v85, 0xbe3c28d5, v80
	v_fma_f32 v56, v75, s24, -v86
	v_add_f32_e32 v58, v57, v58
	v_add_co_u32_e32 v0, vcc, v25, v0
	v_add_f32_e32 v57, v85, v54
	v_add_f32_e32 v56, v56, v58
	v_addc_co_u32_e32 v1, vcc, v26, v1, vcc
	v_add_u32_e32 v21, s0, v21
	global_store_dwordx2 v[0:1], v[56:57], off
	v_lshlrev_b64 v[0:1], 3, v[21:22]
	v_add_u32_e32 v21, s0, v21
	v_add_co_u32_e32 v0, vcc, v25, v0
	v_addc_co_u32_e32 v1, vcc, v26, v1, vcc
	global_store_dwordx2 v[0:1], v[95:96], off
	v_lshlrev_b64 v[0:1], 3, v[21:22]
	v_add_u32_e32 v21, s0, v21
	v_add_co_u32_e32 v0, vcc, v25, v0
	v_addc_co_u32_e32 v1, vcc, v26, v1, vcc
	;; [unrolled: 5-line block ×13, first 2 shown]
	v_fmac_f32_e32 v94, 0xbeb8f4ab, v80
	global_store_dwordx2 v[0:1], v[89:90], off
	v_lshlrev_b64 v[0:1], 3, v[21:22]
	v_add_f32_e32 v94, v94, v93
	v_mov_b32_e32 v93, v111
	v_fmac_f32_e32 v93, 0x3f6eb680, v75
	v_add_co_u32_e32 v0, vcc, v25, v0
	v_add_f32_e32 v93, v93, v109
	v_addc_co_u32_e32 v1, vcc, v26, v1, vcc
	v_add_u32_e32 v21, s0, v21
	v_fmac_f32_e32 v69, 0x3e3c28d5, v80
	global_store_dwordx2 v[0:1], v[93:94], off
	v_lshlrev_b64 v[0:1], 3, v[21:22]
	v_add_f32_e32 v69, v69, v68
	v_mov_b32_e32 v68, v86
	v_fmac_f32_e32 v68, 0xbf7ba420, v75
	v_add_co_u32_e32 v0, vcc, v25, v0
	v_add_f32_e32 v68, v68, v99
	v_addc_co_u32_e32 v1, vcc, v26, v1, vcc
	global_store_dwordx2 v[0:1], v[68:69], off
.LBB0_12:
	s_endpgm
	.section	.rodata,"a",@progbits
	.p2align	6, 0x0
	.amdhsa_kernel fft_rtc_fwd_len289_factors_17_17_wgs_119_tpt_17_sp_op_CI_CI_sbrc_xy_z_unaligned_dirReg
		.amdhsa_group_segment_fixed_size 0
		.amdhsa_private_segment_fixed_size 0
		.amdhsa_kernarg_size 104
		.amdhsa_user_sgpr_count 6
		.amdhsa_user_sgpr_private_segment_buffer 1
		.amdhsa_user_sgpr_dispatch_ptr 0
		.amdhsa_user_sgpr_queue_ptr 0
		.amdhsa_user_sgpr_kernarg_segment_ptr 1
		.amdhsa_user_sgpr_dispatch_id 0
		.amdhsa_user_sgpr_flat_scratch_init 0
		.amdhsa_user_sgpr_private_segment_size 0
		.amdhsa_uses_dynamic_stack 0
		.amdhsa_system_sgpr_private_segment_wavefront_offset 0
		.amdhsa_system_sgpr_workgroup_id_x 1
		.amdhsa_system_sgpr_workgroup_id_y 0
		.amdhsa_system_sgpr_workgroup_id_z 0
		.amdhsa_system_sgpr_workgroup_info 0
		.amdhsa_system_vgpr_workitem_id 0
		.amdhsa_next_free_vgpr 112
		.amdhsa_next_free_sgpr 30
		.amdhsa_reserve_vcc 1
		.amdhsa_reserve_flat_scratch 0
		.amdhsa_float_round_mode_32 0
		.amdhsa_float_round_mode_16_64 0
		.amdhsa_float_denorm_mode_32 3
		.amdhsa_float_denorm_mode_16_64 3
		.amdhsa_dx10_clamp 1
		.amdhsa_ieee_mode 1
		.amdhsa_fp16_overflow 0
		.amdhsa_exception_fp_ieee_invalid_op 0
		.amdhsa_exception_fp_denorm_src 0
		.amdhsa_exception_fp_ieee_div_zero 0
		.amdhsa_exception_fp_ieee_overflow 0
		.amdhsa_exception_fp_ieee_underflow 0
		.amdhsa_exception_fp_ieee_inexact 0
		.amdhsa_exception_int_div_zero 0
	.end_amdhsa_kernel
	.text
.Lfunc_end0:
	.size	fft_rtc_fwd_len289_factors_17_17_wgs_119_tpt_17_sp_op_CI_CI_sbrc_xy_z_unaligned_dirReg, .Lfunc_end0-fft_rtc_fwd_len289_factors_17_17_wgs_119_tpt_17_sp_op_CI_CI_sbrc_xy_z_unaligned_dirReg
                                        ; -- End function
	.section	.AMDGPU.csdata,"",@progbits
; Kernel info:
; codeLenInByte = 13980
; NumSgprs: 34
; NumVgprs: 112
; ScratchSize: 0
; MemoryBound: 0
; FloatMode: 240
; IeeeMode: 1
; LDSByteSize: 0 bytes/workgroup (compile time only)
; SGPRBlocks: 4
; VGPRBlocks: 27
; NumSGPRsForWavesPerEU: 34
; NumVGPRsForWavesPerEU: 112
; Occupancy: 2
; WaveLimiterHint : 1
; COMPUTE_PGM_RSRC2:SCRATCH_EN: 0
; COMPUTE_PGM_RSRC2:USER_SGPR: 6
; COMPUTE_PGM_RSRC2:TRAP_HANDLER: 0
; COMPUTE_PGM_RSRC2:TGID_X_EN: 1
; COMPUTE_PGM_RSRC2:TGID_Y_EN: 0
; COMPUTE_PGM_RSRC2:TGID_Z_EN: 0
; COMPUTE_PGM_RSRC2:TIDIG_COMP_CNT: 0
	.type	__hip_cuid_2da49e521d8d1fa7,@object ; @__hip_cuid_2da49e521d8d1fa7
	.section	.bss,"aw",@nobits
	.globl	__hip_cuid_2da49e521d8d1fa7
__hip_cuid_2da49e521d8d1fa7:
	.byte	0                               ; 0x0
	.size	__hip_cuid_2da49e521d8d1fa7, 1

	.ident	"AMD clang version 19.0.0git (https://github.com/RadeonOpenCompute/llvm-project roc-6.4.0 25133 c7fe45cf4b819c5991fe208aaa96edf142730f1d)"
	.section	".note.GNU-stack","",@progbits
	.addrsig
	.addrsig_sym __hip_cuid_2da49e521d8d1fa7
	.amdgpu_metadata
---
amdhsa.kernels:
  - .args:
      - .actual_access:  read_only
        .address_space:  global
        .offset:         0
        .size:           8
        .value_kind:     global_buffer
      - .offset:         8
        .size:           8
        .value_kind:     by_value
      - .actual_access:  read_only
        .address_space:  global
        .offset:         16
        .size:           8
        .value_kind:     global_buffer
      - .actual_access:  read_only
        .address_space:  global
        .offset:         24
        .size:           8
        .value_kind:     global_buffer
      - .actual_access:  read_only
        .address_space:  global
        .offset:         32
        .size:           8
        .value_kind:     global_buffer
      - .offset:         40
        .size:           8
        .value_kind:     by_value
      - .actual_access:  read_only
        .address_space:  global
        .offset:         48
        .size:           8
        .value_kind:     global_buffer
      - .actual_access:  read_only
        .address_space:  global
        .offset:         56
        .size:           8
        .value_kind:     global_buffer
      - .offset:         64
        .size:           4
        .value_kind:     by_value
      - .actual_access:  read_only
        .address_space:  global
        .offset:         72
        .size:           8
        .value_kind:     global_buffer
      - .actual_access:  read_only
        .address_space:  global
        .offset:         80
        .size:           8
        .value_kind:     global_buffer
      - .actual_access:  read_only
        .address_space:  global
        .offset:         88
        .size:           8
        .value_kind:     global_buffer
      - .actual_access:  write_only
        .address_space:  global
        .offset:         96
        .size:           8
        .value_kind:     global_buffer
    .group_segment_fixed_size: 0
    .kernarg_segment_align: 8
    .kernarg_segment_size: 104
    .language:       OpenCL C
    .language_version:
      - 2
      - 0
    .max_flat_workgroup_size: 119
    .name:           fft_rtc_fwd_len289_factors_17_17_wgs_119_tpt_17_sp_op_CI_CI_sbrc_xy_z_unaligned_dirReg
    .private_segment_fixed_size: 0
    .sgpr_count:     34
    .sgpr_spill_count: 0
    .symbol:         fft_rtc_fwd_len289_factors_17_17_wgs_119_tpt_17_sp_op_CI_CI_sbrc_xy_z_unaligned_dirReg.kd
    .uniform_work_group_size: 1
    .uses_dynamic_stack: false
    .vgpr_count:     112
    .vgpr_spill_count: 0
    .wavefront_size: 64
amdhsa.target:   amdgcn-amd-amdhsa--gfx906
amdhsa.version:
  - 1
  - 2
...

	.end_amdgpu_metadata
